;; amdgpu-corpus repo=ROCm/rocFFT kind=compiled arch=gfx1201 opt=O3
	.text
	.amdgcn_target "amdgcn-amd-amdhsa--gfx1201"
	.amdhsa_code_object_version 6
	.protected	fft_rtc_fwd_len1848_factors_3_11_7_4_2_wgs_231_tpt_231_halfLds_dp_ip_CI_sbrr_dirReg ; -- Begin function fft_rtc_fwd_len1848_factors_3_11_7_4_2_wgs_231_tpt_231_halfLds_dp_ip_CI_sbrr_dirReg
	.globl	fft_rtc_fwd_len1848_factors_3_11_7_4_2_wgs_231_tpt_231_halfLds_dp_ip_CI_sbrr_dirReg
	.p2align	8
	.type	fft_rtc_fwd_len1848_factors_3_11_7_4_2_wgs_231_tpt_231_halfLds_dp_ip_CI_sbrr_dirReg,@function
fft_rtc_fwd_len1848_factors_3_11_7_4_2_wgs_231_tpt_231_halfLds_dp_ip_CI_sbrr_dirReg: ; @fft_rtc_fwd_len1848_factors_3_11_7_4_2_wgs_231_tpt_231_halfLds_dp_ip_CI_sbrr_dirReg
; %bb.0:
	s_clause 0x2
	s_load_b64 s[12:13], s[0:1], 0x18
	s_load_b128 s[4:7], s[0:1], 0x0
	s_load_b64 s[10:11], s[0:1], 0x50
	v_mul_u32_u24_e32 v1, 0x11c, v0
	v_mov_b32_e32 v3, 0
	s_delay_alu instid0(VALU_DEP_2) | instskip(NEXT) | instid1(VALU_DEP_1)
	v_lshrrev_b32_e32 v1, 16, v1
	v_add_nc_u32_e32 v5, ttmp9, v1
	v_mov_b32_e32 v1, 0
	v_mov_b32_e32 v2, 0
	;; [unrolled: 1-line block ×3, first 2 shown]
	s_wait_kmcnt 0x0
	s_load_b64 s[8:9], s[12:13], 0x0
	v_cmp_lt_u64_e64 s2, s[6:7], 2
	s_delay_alu instid0(VALU_DEP_1)
	s_and_b32 vcc_lo, exec_lo, s2
	s_cbranch_vccnz .LBB0_8
; %bb.1:
	s_load_b64 s[2:3], s[0:1], 0x10
	v_mov_b32_e32 v1, 0
	v_mov_b32_e32 v2, 0
	s_add_nc_u64 s[14:15], s[12:13], 8
	s_mov_b64 s[16:17], 1
	s_wait_kmcnt 0x0
	s_add_nc_u64 s[18:19], s[2:3], 8
	s_mov_b32 s3, 0
.LBB0_2:                                ; =>This Inner Loop Header: Depth=1
	s_load_b64 s[20:21], s[18:19], 0x0
                                        ; implicit-def: $vgpr7_vgpr8
	s_mov_b32 s2, exec_lo
	s_wait_kmcnt 0x0
	v_or_b32_e32 v4, s21, v6
	s_delay_alu instid0(VALU_DEP_1)
	v_cmpx_ne_u64_e32 0, v[3:4]
	s_wait_alu 0xfffe
	s_xor_b32 s22, exec_lo, s2
	s_cbranch_execz .LBB0_4
; %bb.3:                                ;   in Loop: Header=BB0_2 Depth=1
	s_cvt_f32_u32 s2, s20
	s_cvt_f32_u32 s23, s21
	s_sub_nc_u64 s[26:27], 0, s[20:21]
	s_wait_alu 0xfffe
	s_delay_alu instid0(SALU_CYCLE_1) | instskip(SKIP_1) | instid1(SALU_CYCLE_2)
	s_fmamk_f32 s2, s23, 0x4f800000, s2
	s_wait_alu 0xfffe
	v_s_rcp_f32 s2, s2
	s_delay_alu instid0(TRANS32_DEP_1) | instskip(SKIP_1) | instid1(SALU_CYCLE_2)
	s_mul_f32 s2, s2, 0x5f7ffffc
	s_wait_alu 0xfffe
	s_mul_f32 s23, s2, 0x2f800000
	s_wait_alu 0xfffe
	s_delay_alu instid0(SALU_CYCLE_2) | instskip(SKIP_1) | instid1(SALU_CYCLE_2)
	s_trunc_f32 s23, s23
	s_wait_alu 0xfffe
	s_fmamk_f32 s2, s23, 0xcf800000, s2
	s_cvt_u32_f32 s25, s23
	s_wait_alu 0xfffe
	s_delay_alu instid0(SALU_CYCLE_1) | instskip(SKIP_1) | instid1(SALU_CYCLE_2)
	s_cvt_u32_f32 s24, s2
	s_wait_alu 0xfffe
	s_mul_u64 s[28:29], s[26:27], s[24:25]
	s_wait_alu 0xfffe
	s_mul_hi_u32 s31, s24, s29
	s_mul_i32 s30, s24, s29
	s_mul_hi_u32 s2, s24, s28
	s_mul_i32 s33, s25, s28
	s_wait_alu 0xfffe
	s_add_nc_u64 s[30:31], s[2:3], s[30:31]
	s_mul_hi_u32 s23, s25, s28
	s_mul_hi_u32 s34, s25, s29
	s_add_co_u32 s2, s30, s33
	s_wait_alu 0xfffe
	s_add_co_ci_u32 s2, s31, s23
	s_mul_i32 s28, s25, s29
	s_add_co_ci_u32 s29, s34, 0
	s_wait_alu 0xfffe
	s_add_nc_u64 s[28:29], s[2:3], s[28:29]
	s_wait_alu 0xfffe
	v_add_co_u32 v4, s2, s24, s28
	s_delay_alu instid0(VALU_DEP_1) | instskip(SKIP_1) | instid1(VALU_DEP_1)
	s_cmp_lg_u32 s2, 0
	s_add_co_ci_u32 s25, s25, s29
	v_readfirstlane_b32 s24, v4
	s_wait_alu 0xfffe
	s_delay_alu instid0(VALU_DEP_1)
	s_mul_u64 s[26:27], s[26:27], s[24:25]
	s_wait_alu 0xfffe
	s_mul_hi_u32 s29, s24, s27
	s_mul_i32 s28, s24, s27
	s_mul_hi_u32 s2, s24, s26
	s_mul_i32 s30, s25, s26
	s_wait_alu 0xfffe
	s_add_nc_u64 s[28:29], s[2:3], s[28:29]
	s_mul_hi_u32 s23, s25, s26
	s_mul_hi_u32 s24, s25, s27
	s_wait_alu 0xfffe
	s_add_co_u32 s2, s28, s30
	s_add_co_ci_u32 s2, s29, s23
	s_mul_i32 s26, s25, s27
	s_add_co_ci_u32 s27, s24, 0
	s_wait_alu 0xfffe
	s_add_nc_u64 s[26:27], s[2:3], s[26:27]
	s_wait_alu 0xfffe
	v_add_co_u32 v4, s2, v4, s26
	s_delay_alu instid0(VALU_DEP_1) | instskip(SKIP_1) | instid1(VALU_DEP_1)
	s_cmp_lg_u32 s2, 0
	s_add_co_ci_u32 s2, s25, s27
	v_mul_hi_u32 v13, v5, v4
	s_wait_alu 0xfffe
	v_mad_co_u64_u32 v[7:8], null, v5, s2, 0
	v_mad_co_u64_u32 v[9:10], null, v6, v4, 0
	;; [unrolled: 1-line block ×3, first 2 shown]
	s_delay_alu instid0(VALU_DEP_3) | instskip(SKIP_1) | instid1(VALU_DEP_4)
	v_add_co_u32 v4, vcc_lo, v13, v7
	s_wait_alu 0xfffd
	v_add_co_ci_u32_e32 v7, vcc_lo, 0, v8, vcc_lo
	s_delay_alu instid0(VALU_DEP_2) | instskip(SKIP_1) | instid1(VALU_DEP_2)
	v_add_co_u32 v4, vcc_lo, v4, v9
	s_wait_alu 0xfffd
	v_add_co_ci_u32_e32 v4, vcc_lo, v7, v10, vcc_lo
	s_wait_alu 0xfffd
	v_add_co_ci_u32_e32 v7, vcc_lo, 0, v12, vcc_lo
	s_delay_alu instid0(VALU_DEP_2) | instskip(SKIP_1) | instid1(VALU_DEP_2)
	v_add_co_u32 v4, vcc_lo, v4, v11
	s_wait_alu 0xfffd
	v_add_co_ci_u32_e32 v9, vcc_lo, 0, v7, vcc_lo
	s_delay_alu instid0(VALU_DEP_2) | instskip(SKIP_1) | instid1(VALU_DEP_3)
	v_mul_lo_u32 v10, s21, v4
	v_mad_co_u64_u32 v[7:8], null, s20, v4, 0
	v_mul_lo_u32 v11, s20, v9
	s_delay_alu instid0(VALU_DEP_2) | instskip(NEXT) | instid1(VALU_DEP_2)
	v_sub_co_u32 v7, vcc_lo, v5, v7
	v_add3_u32 v8, v8, v11, v10
	s_delay_alu instid0(VALU_DEP_1) | instskip(SKIP_1) | instid1(VALU_DEP_1)
	v_sub_nc_u32_e32 v10, v6, v8
	s_wait_alu 0xfffd
	v_subrev_co_ci_u32_e64 v10, s2, s21, v10, vcc_lo
	v_add_co_u32 v11, s2, v4, 2
	s_wait_alu 0xf1ff
	v_add_co_ci_u32_e64 v12, s2, 0, v9, s2
	v_sub_co_u32 v13, s2, v7, s20
	v_sub_co_ci_u32_e32 v8, vcc_lo, v6, v8, vcc_lo
	s_wait_alu 0xf1ff
	v_subrev_co_ci_u32_e64 v10, s2, 0, v10, s2
	s_delay_alu instid0(VALU_DEP_3) | instskip(NEXT) | instid1(VALU_DEP_3)
	v_cmp_le_u32_e32 vcc_lo, s20, v13
	v_cmp_eq_u32_e64 s2, s21, v8
	s_wait_alu 0xfffd
	v_cndmask_b32_e64 v13, 0, -1, vcc_lo
	v_cmp_le_u32_e32 vcc_lo, s21, v10
	s_wait_alu 0xfffd
	v_cndmask_b32_e64 v14, 0, -1, vcc_lo
	v_cmp_le_u32_e32 vcc_lo, s20, v7
	;; [unrolled: 3-line block ×3, first 2 shown]
	s_wait_alu 0xfffd
	v_cndmask_b32_e64 v15, 0, -1, vcc_lo
	v_cmp_eq_u32_e32 vcc_lo, s21, v10
	s_wait_alu 0xf1ff
	s_delay_alu instid0(VALU_DEP_2)
	v_cndmask_b32_e64 v7, v15, v7, s2
	s_wait_alu 0xfffd
	v_cndmask_b32_e32 v10, v14, v13, vcc_lo
	v_add_co_u32 v13, vcc_lo, v4, 1
	s_wait_alu 0xfffd
	v_add_co_ci_u32_e32 v14, vcc_lo, 0, v9, vcc_lo
	s_delay_alu instid0(VALU_DEP_3) | instskip(SKIP_2) | instid1(VALU_DEP_3)
	v_cmp_ne_u32_e32 vcc_lo, 0, v10
	s_wait_alu 0xfffd
	v_cndmask_b32_e32 v10, v13, v11, vcc_lo
	v_cndmask_b32_e32 v8, v14, v12, vcc_lo
	v_cmp_ne_u32_e32 vcc_lo, 0, v7
	s_wait_alu 0xfffd
	s_delay_alu instid0(VALU_DEP_2)
	v_dual_cndmask_b32 v7, v4, v10 :: v_dual_cndmask_b32 v8, v9, v8
.LBB0_4:                                ;   in Loop: Header=BB0_2 Depth=1
	s_wait_alu 0xfffe
	s_and_not1_saveexec_b32 s2, s22
	s_cbranch_execz .LBB0_6
; %bb.5:                                ;   in Loop: Header=BB0_2 Depth=1
	v_cvt_f32_u32_e32 v4, s20
	s_sub_co_i32 s22, 0, s20
	s_delay_alu instid0(VALU_DEP_1) | instskip(NEXT) | instid1(TRANS32_DEP_1)
	v_rcp_iflag_f32_e32 v4, v4
	v_mul_f32_e32 v4, 0x4f7ffffe, v4
	s_delay_alu instid0(VALU_DEP_1) | instskip(SKIP_1) | instid1(VALU_DEP_1)
	v_cvt_u32_f32_e32 v4, v4
	s_wait_alu 0xfffe
	v_mul_lo_u32 v7, s22, v4
	s_delay_alu instid0(VALU_DEP_1) | instskip(NEXT) | instid1(VALU_DEP_1)
	v_mul_hi_u32 v7, v4, v7
	v_add_nc_u32_e32 v4, v4, v7
	s_delay_alu instid0(VALU_DEP_1) | instskip(NEXT) | instid1(VALU_DEP_1)
	v_mul_hi_u32 v4, v5, v4
	v_mul_lo_u32 v7, v4, s20
	v_add_nc_u32_e32 v8, 1, v4
	s_delay_alu instid0(VALU_DEP_2) | instskip(NEXT) | instid1(VALU_DEP_1)
	v_sub_nc_u32_e32 v7, v5, v7
	v_subrev_nc_u32_e32 v9, s20, v7
	v_cmp_le_u32_e32 vcc_lo, s20, v7
	s_wait_alu 0xfffd
	s_delay_alu instid0(VALU_DEP_2) | instskip(NEXT) | instid1(VALU_DEP_1)
	v_dual_cndmask_b32 v7, v7, v9 :: v_dual_cndmask_b32 v4, v4, v8
	v_cmp_le_u32_e32 vcc_lo, s20, v7
	s_delay_alu instid0(VALU_DEP_2) | instskip(SKIP_1) | instid1(VALU_DEP_1)
	v_add_nc_u32_e32 v8, 1, v4
	s_wait_alu 0xfffd
	v_dual_cndmask_b32 v7, v4, v8 :: v_dual_mov_b32 v8, v3
.LBB0_6:                                ;   in Loop: Header=BB0_2 Depth=1
	s_wait_alu 0xfffe
	s_or_b32 exec_lo, exec_lo, s2
	s_load_b64 s[22:23], s[14:15], 0x0
	s_delay_alu instid0(VALU_DEP_1)
	v_mul_lo_u32 v4, v8, s20
	v_mul_lo_u32 v11, v7, s21
	v_mad_co_u64_u32 v[9:10], null, v7, s20, 0
	s_add_nc_u64 s[16:17], s[16:17], 1
	s_add_nc_u64 s[14:15], s[14:15], 8
	s_wait_alu 0xfffe
	v_cmp_ge_u64_e64 s2, s[16:17], s[6:7]
	s_add_nc_u64 s[18:19], s[18:19], 8
	s_delay_alu instid0(VALU_DEP_2) | instskip(NEXT) | instid1(VALU_DEP_3)
	v_add3_u32 v4, v10, v11, v4
	v_sub_co_u32 v5, vcc_lo, v5, v9
	s_wait_alu 0xfffd
	s_delay_alu instid0(VALU_DEP_2) | instskip(SKIP_3) | instid1(VALU_DEP_2)
	v_sub_co_ci_u32_e32 v4, vcc_lo, v6, v4, vcc_lo
	s_and_b32 vcc_lo, exec_lo, s2
	s_wait_kmcnt 0x0
	v_mul_lo_u32 v6, s23, v5
	v_mul_lo_u32 v4, s22, v4
	v_mad_co_u64_u32 v[1:2], null, s22, v5, v[1:2]
	s_delay_alu instid0(VALU_DEP_1)
	v_add3_u32 v2, v6, v2, v4
	s_wait_alu 0xfffe
	s_cbranch_vccnz .LBB0_9
; %bb.7:                                ;   in Loop: Header=BB0_2 Depth=1
	v_dual_mov_b32 v5, v7 :: v_dual_mov_b32 v6, v8
	s_branch .LBB0_2
.LBB0_8:
	v_dual_mov_b32 v8, v6 :: v_dual_mov_b32 v7, v5
.LBB0_9:
	s_lshl_b64 s[2:3], s[6:7], 3
	v_mul_hi_u32 v3, 0x11bb4a5, v0
	s_wait_alu 0xfffe
	s_add_nc_u64 s[2:3], s[12:13], s[2:3]
                                        ; implicit-def: $vgpr60
	s_load_b64 s[2:3], s[2:3], 0x0
	s_load_b64 s[0:1], s[0:1], 0x20
	s_delay_alu instid0(VALU_DEP_1) | instskip(NEXT) | instid1(VALU_DEP_1)
	v_mul_u32_u24_e32 v3, 0xe7, v3
	v_sub_nc_u32_e32 v56, v0, v3
	s_delay_alu instid0(VALU_DEP_1)
	v_add_nc_u32_e32 v123, 0xe7, v56
	s_wait_kmcnt 0x0
	v_mul_lo_u32 v4, s2, v8
	v_mul_lo_u32 v5, s3, v7
	v_mad_co_u64_u32 v[1:2], null, s2, v7, v[1:2]
	v_cmp_gt_u64_e32 vcc_lo, s[0:1], v[7:8]
	v_cmp_le_u64_e64 s0, s[0:1], v[7:8]
	s_delay_alu instid0(VALU_DEP_3) | instskip(NEXT) | instid1(VALU_DEP_2)
	v_add3_u32 v2, v5, v2, v4
	s_and_saveexec_b32 s1, s0
	s_wait_alu 0xfffe
	s_xor_b32 s0, exec_lo, s1
; %bb.10:
	v_add_nc_u32_e32 v60, 0xe7, v56
; %bb.11:
	s_wait_alu 0xfffe
	s_or_saveexec_b32 s1, s0
	v_lshlrev_b64_e32 v[58:59], 4, v[1:2]
                                        ; implicit-def: $vgpr30_vgpr31
                                        ; implicit-def: $vgpr2_vgpr3
                                        ; implicit-def: $vgpr26_vgpr27
                                        ; implicit-def: $vgpr50_vgpr51
                                        ; implicit-def: $vgpr46_vgpr47
                                        ; implicit-def: $vgpr54_vgpr55
                                        ; implicit-def: $vgpr42_vgpr43
                                        ; implicit-def: $vgpr38_vgpr39
                                        ; implicit-def: $vgpr34_vgpr35
	s_wait_alu 0xfffe
	s_xor_b32 exec_lo, exec_lo, s1
	s_cbranch_execz .LBB0_15
; %bb.12:
	v_add_nc_u32_e32 v10, 0x268, v56
	v_mad_co_u64_u32 v[0:1], null, s8, v56, 0
	v_add_nc_u32_e32 v12, 0x4d0, v56
	v_mad_co_u64_u32 v[8:9], null, s8, v123, 0
	s_delay_alu instid0(VALU_DEP_4) | instskip(NEXT) | instid1(VALU_DEP_3)
	v_mad_co_u64_u32 v[2:3], null, s8, v10, 0
	v_mad_co_u64_u32 v[6:7], null, s8, v12, 0
	v_add_nc_u32_e32 v17, 0x5b7, v56
	s_mov_b32 s2, exec_lo
                                        ; implicit-def: $vgpr52_vgpr53
                                        ; implicit-def: $vgpr44_vgpr45
                                        ; implicit-def: $vgpr48_vgpr49
	v_add_nc_u32_e32 v16, 0x34f, v56
	s_delay_alu instid0(VALU_DEP_4) | instskip(SKIP_4) | instid1(VALU_DEP_4)
	v_mad_co_u64_u32 v[4:5], null, s9, v56, v[1:2]
	v_mov_b32_e32 v1, v3
	v_mov_b32_e32 v3, v7
	;; [unrolled: 1-line block ×3, first 2 shown]
	v_mad_co_u64_u32 v[14:15], null, s8, v17, 0
	v_mad_co_u64_u32 v[10:11], null, s9, v10, v[1:2]
	v_mov_b32_e32 v1, v4
	v_add_co_u32 v4, s0, s10, v58
	s_wait_alu 0xf1ff
	v_add_co_ci_u32_e64 v5, s0, s11, v59, s0
	s_delay_alu instid0(VALU_DEP_3) | instskip(NEXT) | instid1(VALU_DEP_3)
	v_lshlrev_b64_e32 v[0:1], 4, v[0:1]
	v_mad_co_u64_u32 v[11:12], null, s9, v12, v[3:4]
	v_mad_co_u64_u32 v[12:13], null, s8, v16, 0
	v_mov_b32_e32 v3, v10
	v_mad_co_u64_u32 v[9:10], null, s9, v123, v[7:8]
	v_add_co_u32 v0, s0, v4, v0
	s_delay_alu instid0(VALU_DEP_4) | instskip(NEXT) | instid1(VALU_DEP_4)
	v_dual_mov_b32 v7, v11 :: v_dual_mov_b32 v10, v13
	v_lshlrev_b64_e32 v[2:3], 4, v[2:3]
	s_wait_alu 0xf1ff
	v_add_co_ci_u32_e64 v1, s0, v5, v1, s0
	s_delay_alu instid0(VALU_DEP_3)
	v_lshlrev_b64_e32 v[6:7], 4, v[6:7]
	v_mad_co_u64_u32 v[10:11], null, s9, v16, v[10:11]
	v_mov_b32_e32 v11, v15
	v_add_co_u32 v2, s0, v4, v2
	v_lshlrev_b64_e32 v[8:9], 4, v[8:9]
	s_wait_alu 0xf1ff
	v_add_co_ci_u32_e64 v3, s0, v5, v3, s0
	v_mad_co_u64_u32 v[15:16], null, s9, v17, v[11:12]
	v_mov_b32_e32 v13, v10
	v_add_co_u32 v6, s0, v4, v6
	s_wait_alu 0xf1ff
	v_add_co_ci_u32_e64 v7, s0, v5, v7, s0
	s_delay_alu instid0(VALU_DEP_3) | instskip(SKIP_4) | instid1(VALU_DEP_4)
	v_lshlrev_b64_e32 v[10:11], 4, v[12:13]
	v_add_co_u32 v8, s0, v4, v8
	v_lshlrev_b64_e32 v[12:13], 4, v[14:15]
	s_wait_alu 0xf1ff
	v_add_co_ci_u32_e64 v9, s0, v5, v9, s0
	v_add_co_u32 v10, s0, v4, v10
	s_wait_alu 0xf1ff
	v_add_co_ci_u32_e64 v11, s0, v5, v11, s0
	v_add_co_u32 v12, s0, v4, v12
	s_wait_alu 0xf1ff
	v_add_co_ci_u32_e64 v13, s0, v5, v13, s0
	s_clause 0x5
	global_load_b128 v[32:35], v[0:1], off
	global_load_b128 v[28:31], v[2:3], off
	;; [unrolled: 1-line block ×6, first 2 shown]
	v_cmpx_gt_u32_e32 0x9a, v56
	s_cbranch_execz .LBB0_14
; %bb.13:
	v_add_nc_u32_e32 v12, 0x1ce, v56
	v_add_nc_u32_e32 v14, 0x436, v56
	;; [unrolled: 1-line block ×3, first 2 shown]
	s_delay_alu instid0(VALU_DEP_3) | instskip(NEXT) | instid1(VALU_DEP_3)
	v_mad_co_u64_u32 v[6:7], null, s8, v12, 0
	v_mad_co_u64_u32 v[8:9], null, s8, v14, 0
	s_delay_alu instid0(VALU_DEP_3) | instskip(NEXT) | instid1(VALU_DEP_2)
	v_mad_co_u64_u32 v[10:11], null, s8, v15, 0
	v_mad_co_u64_u32 v[12:13], null, s9, v12, v[7:8]
	s_delay_alu instid0(VALU_DEP_1) | instskip(NEXT) | instid1(VALU_DEP_3)
	v_mov_b32_e32 v7, v12
	v_mad_co_u64_u32 v[13:14], null, s9, v14, v[9:10]
	s_delay_alu instid0(VALU_DEP_4) | instskip(NEXT) | instid1(VALU_DEP_3)
	v_mad_co_u64_u32 v[14:15], null, s9, v15, v[11:12]
	v_lshlrev_b64_e32 v[6:7], 4, v[6:7]
	s_delay_alu instid0(VALU_DEP_3) | instskip(NEXT) | instid1(VALU_DEP_3)
	v_mov_b32_e32 v9, v13
	v_mov_b32_e32 v11, v14
	s_delay_alu instid0(VALU_DEP_3) | instskip(NEXT) | instid1(VALU_DEP_3)
	v_add_co_u32 v6, s0, v4, v6
	v_lshlrev_b64_e32 v[8:9], 4, v[8:9]
	s_wait_alu 0xf1ff
	v_add_co_ci_u32_e64 v7, s0, v5, v7, s0
	v_lshlrev_b64_e32 v[10:11], 4, v[10:11]
	s_delay_alu instid0(VALU_DEP_3) | instskip(SKIP_2) | instid1(VALU_DEP_3)
	v_add_co_u32 v8, s0, v4, v8
	s_wait_alu 0xf1ff
	v_add_co_ci_u32_e64 v9, s0, v5, v9, s0
	v_add_co_u32 v4, s0, v4, v10
	s_wait_alu 0xf1ff
	v_add_co_ci_u32_e64 v5, s0, v5, v11, s0
	s_clause 0x2
	global_load_b128 v[48:51], v[6:7], off
	global_load_b128 v[52:55], v[8:9], off
	;; [unrolled: 1-line block ×3, first 2 shown]
.LBB0_14:
	s_wait_alu 0xfffe
	s_or_b32 exec_lo, exec_lo, s2
	v_mov_b32_e32 v60, v123
.LBB0_15:
	s_or_b32 exec_lo, exec_lo, s1
	s_wait_loadcnt 0x3
	v_add_f64_e32 v[4:5], v[28:29], v[0:1]
	s_wait_loadcnt 0x0
	v_add_f64_e32 v[6:7], v[24:25], v[40:41]
	v_add_f64_e32 v[8:9], v[44:45], v[52:53]
	v_add_f64_e32 v[10:11], v[28:29], v[32:33]
	v_add_f64_e64 v[14:15], v[30:31], -v[2:3]
	v_add_f64_e32 v[12:13], v[40:41], v[36:37]
	v_add_f64_e32 v[16:17], v[48:49], v[52:53]
	v_add_f64_e64 v[22:23], v[42:43], -v[26:27]
	s_mov_b32 s0, 0xe8584caa
	s_mov_b32 s1, 0x3febb67a
	;; [unrolled: 1-line block ×3, first 2 shown]
	s_wait_alu 0xfffe
	s_mov_b32 s2, s0
	v_fma_f64 v[18:19], v[4:5], -0.5, v[32:33]
	v_fma_f64 v[32:33], v[6:7], -0.5, v[36:37]
	v_add_f64_e64 v[36:37], v[54:55], -v[46:47]
	v_fma_f64 v[61:62], v[8:9], -0.5, v[48:49]
	v_add_f64_e32 v[4:5], v[0:1], v[10:11]
	v_add_f64_e32 v[48:49], v[24:25], v[12:13]
	;; [unrolled: 1-line block ×3, first 2 shown]
	v_fma_f64 v[6:7], v[14:15], s[0:1], v[18:19]
	s_wait_alu 0xfffe
	v_fma_f64 v[20:21], v[14:15], s[2:3], v[18:19]
	v_fma_f64 v[8:9], v[22:23], s[0:1], v[32:33]
	;; [unrolled: 1-line block ×5, first 2 shown]
	v_mad_u32_u24 v32, v56, 24, 0
	v_cmp_gt_u32_e64 s1, 0x9a, v56
	v_mad_i32_i24 v18, v60, 24, 0
	ds_store_2addr_b64 v32, v[4:5], v[6:7] offset1:1
	ds_store_b64 v32, v[20:21] offset:16
	ds_store_2addr_b64 v18, v[48:49], v[8:9] offset1:1
	ds_store_b64 v18, v[10:11] offset:16
	v_add_nc_u32_e32 v33, 0x2b50, v32
	s_and_saveexec_b32 s0, s1
	s_cbranch_execz .LBB0_17
; %bb.16:
	ds_store_2addr_b64 v33, v[12:13], v[14:15] offset1:1
	ds_store_b64 v32, v[16:17] offset:11104
.LBB0_17:
	s_wait_alu 0xfffe
	s_or_b32 exec_lo, exec_lo, s0
	v_mul_i32_i24_e32 v37, 24, v60
	v_cmp_gt_u32_e64 s0, 0xa8, v56
	v_lshlrev_b32_e32 v36, 4, v56
	global_wb scope:SCOPE_SE
	s_wait_dscnt 0x0
	s_barrier_signal -1
	s_barrier_wait -1
	global_inv scope:SCOPE_SE
                                        ; implicit-def: $vgpr61_vgpr62
	s_and_saveexec_b32 s2, s0
	s_cbranch_execz .LBB0_19
; %bb.18:
	v_sub_nc_u32_e32 v12, v32, v36
	s_delay_alu instid0(VALU_DEP_1)
	v_add_nc_u32_e32 v4, 0x1400, v12
	v_add_nc_u32_e32 v5, 0x800, v12
	v_add_nc_u32_e32 v13, 0x1e00, v12
	v_add_nc_u32_e32 v16, 0x2800, v12
	ds_load_2addr_b64 v[8:11], v4 offset0:32 offset1:200
	ds_load_2addr_b64 v[20:23], v5 offset0:80 offset1:248
	ds_load_2addr_b64 v[4:7], v12 offset1:168
	ds_load_b64 v[61:62], v12 offset:13440
	ds_load_2addr_b64 v[12:15], v13 offset0:48 offset1:216
	ds_load_2addr_b64 v[16:19], v16 offset0:64 offset1:232
	s_wait_dscnt 0x4
	v_dual_mov_b32 v49, v23 :: v_dual_mov_b32 v48, v22
.LBB0_19:
	s_wait_alu 0xfffe
	s_or_b32 exec_lo, exec_lo, s2
	v_add_f64_e32 v[22:23], v[30:31], v[2:3]
	v_add_f64_e32 v[63:64], v[26:27], v[42:43]
	;; [unrolled: 1-line block ×4, first 2 shown]
	v_add_f64_e64 v[28:29], v[28:29], -v[0:1]
	v_add_f64_e32 v[42:43], v[42:43], v[38:39]
	v_add_f64_e32 v[54:55], v[50:51], v[54:55]
	v_add_f64_e64 v[24:25], v[40:41], -v[24:25]
	v_add_f64_e64 v[44:45], v[52:53], -v[44:45]
	s_mov_b32 s2, 0xe8584caa
	s_mov_b32 s3, 0xbfebb67a
	;; [unrolled: 1-line block ×3, first 2 shown]
	s_wait_alu 0xfffe
	s_mov_b32 s6, s2
	global_wb scope:SCOPE_SE
	s_wait_dscnt 0x0
	s_barrier_signal -1
	s_barrier_wait -1
	global_inv scope:SCOPE_SE
	v_fma_f64 v[22:23], v[22:23], -0.5, v[34:35]
	v_fma_f64 v[63:64], v[63:64], -0.5, v[38:39]
	;; [unrolled: 1-line block ×3, first 2 shown]
	v_add_f64_e32 v[0:1], v[2:3], v[30:31]
	v_add_f64_e32 v[38:39], v[26:27], v[42:43]
	;; [unrolled: 1-line block ×3, first 2 shown]
	v_fma_f64 v[2:3], v[28:29], s[2:3], v[22:23]
	s_wait_alu 0xfffe
	v_fma_f64 v[34:35], v[28:29], s[6:7], v[22:23]
	v_fma_f64 v[40:41], v[24:25], s[2:3], v[63:64]
	v_fma_f64 v[24:25], v[24:25], s[6:7], v[63:64]
	v_fma_f64 v[28:29], v[44:45], s[2:3], v[50:51]
	v_fma_f64 v[30:31], v[44:45], s[6:7], v[50:51]
	v_add_nc_u32_e32 v22, 0, v37
	ds_store_2addr_b64 v32, v[0:1], v[2:3] offset1:1
	ds_store_b64 v32, v[34:35] offset:16
	ds_store_2addr_b64 v22, v[38:39], v[40:41] offset1:1
	ds_store_b64 v22, v[24:25] offset:16
	s_and_saveexec_b32 s2, s1
	s_cbranch_execz .LBB0_21
; %bb.20:
	ds_store_2addr_b64 v33, v[26:27], v[28:29] offset1:1
	ds_store_b64 v32, v[30:31] offset:11104
.LBB0_21:
	s_wait_alu 0xfffe
	s_or_b32 exec_lo, exec_lo, s2
	global_wb scope:SCOPE_SE
	s_wait_dscnt 0x0
	s_barrier_signal -1
	s_barrier_wait -1
	global_inv scope:SCOPE_SE
                                        ; implicit-def: $vgpr42_vgpr43
	s_and_saveexec_b32 s1, s0
	s_cbranch_execz .LBB0_23
; %bb.22:
	v_sub_nc_u32_e32 v26, v32, v36
	s_delay_alu instid0(VALU_DEP_1)
	v_add_nc_u32_e32 v0, 0x1400, v26
	v_add_nc_u32_e32 v1, 0x800, v26
	;; [unrolled: 1-line block ×4, first 2 shown]
	ds_load_2addr_b64 v[22:25], v0 offset0:32 offset1:200
	ds_load_2addr_b64 v[34:37], v1 offset0:80 offset1:248
	ds_load_2addr_b64 v[0:3], v26 offset1:168
	ds_load_b64 v[42:43], v26 offset:13440
	ds_load_2addr_b64 v[26:29], v27 offset0:48 offset1:216
	ds_load_2addr_b64 v[30:33], v30 offset0:64 offset1:232
	s_wait_dscnt 0x5
	v_mov_b32_e32 v41, v23
	s_wait_dscnt 0x4
	v_dual_mov_b32 v39, v37 :: v_dual_mov_b32 v40, v22
	v_mov_b32_e32 v38, v36
.LBB0_23:
	s_wait_alu 0xfffe
	s_or_b32 exec_lo, exec_lo, s1
	v_and_b32_e32 v57, 0xff, v56
	s_mov_b32 s12, 0x43842ef
	s_mov_b32 s22, 0xbb3a28a1
	;; [unrolled: 1-line block ×4, first 2 shown]
	v_mul_lo_u16 v22, 0xab, v57
	s_mov_b32 s3, 0xbfed1bb4
	s_mov_b32 s2, 0x8eee2c13
	;; [unrolled: 1-line block ×4, first 2 shown]
	v_lshrrev_b16 v134, 9, v22
	s_mov_b32 s18, 0x8764f0ba
	s_mov_b32 s14, 0xd9c712b6
	;; [unrolled: 1-line block ×4, first 2 shown]
	v_mul_lo_u16 v22, v134, 3
	s_mov_b32 s19, 0x3feaeb8c
	s_mov_b32 s15, 0x3fda9628
	;; [unrolled: 1-line block ×4, first 2 shown]
	v_sub_nc_u16 v22, v56, v22
	s_mov_b32 s27, 0x3fd207e7
	s_mov_b32 s26, 0xfd768dbf
	;; [unrolled: 1-line block ×4, first 2 shown]
	v_and_b32_e32 v135, 0xff, v22
	s_mov_b32 s24, 0x9bcd5057
	s_mov_b32 s25, 0xbfeeb42a
	s_delay_alu instid0(VALU_DEP_1) | instskip(NEXT) | instid1(VALU_DEP_1)
	v_mul_u32_u24_e32 v22, 10, v135
	v_lshlrev_b32_e32 v22, 4, v22
	s_clause 0x9
	global_load_b128 v[44:47], v22, s[4:5]
	global_load_b128 v[50:53], v22, s[4:5] offset:144
	global_load_b128 v[63:66], v22, s[4:5] offset:16
	;; [unrolled: 1-line block ×9, first 2 shown]
	global_wb scope:SCOPE_SE
	s_wait_loadcnt_dscnt 0x0
	s_barrier_signal -1
	s_barrier_wait -1
	global_inv scope:SCOPE_SE
	v_mul_f64_e32 v[22:23], v[6:7], v[46:47]
	v_mul_f64_e32 v[54:55], v[61:62], v[52:53]
	;; [unrolled: 1-line block ×8, first 2 shown]
	v_fma_f64 v[36:37], v[2:3], v[44:45], v[22:23]
	v_fma_f64 v[22:23], v[42:43], v[50:51], v[54:55]
	v_mul_f64_e32 v[2:3], v[48:49], v[83:84]
	v_mul_f64_e32 v[54:55], v[16:17], v[87:88]
	v_fma_f64 v[34:35], v[34:35], v[63:64], v[67:68]
	v_fma_f64 v[32:33], v[32:33], v[69:70], v[73:74]
	v_fma_f64 v[71:72], v[61:62], v[50:51], -v[52:53]
	v_fma_f64 v[73:74], v[6:7], v[44:45], -v[46:47]
	v_mul_f64_e32 v[6:7], v[38:39], v[83:84]
	v_mul_f64_e32 v[50:51], v[8:9], v[91:92]
	;; [unrolled: 1-line block ×4, first 2 shown]
	v_fma_f64 v[67:68], v[20:21], v[63:64], -v[65:66]
	v_fma_f64 v[69:70], v[18:19], v[69:70], -v[75:76]
	v_mul_f64_e32 v[63:64], v[40:41], v[91:92]
	v_mul_f64_e32 v[65:66], v[12:13], v[103:104]
	;; [unrolled: 1-line block ×4, first 2 shown]
	v_add_f64_e64 v[42:43], v[36:37], -v[22:23]
	v_fma_f64 v[38:39], v[38:39], v[81:82], v[2:3]
	v_fma_f64 v[30:31], v[30:31], v[85:86], v[54:55]
	v_mul_f64_e32 v[2:3], v[10:11], v[99:100]
	v_add_f64_e64 v[79:80], v[34:35], -v[32:33]
	v_mul_f64_e32 v[99:100], v[24:25], v[99:100]
	v_add_f64_e32 v[44:45], v[73:74], v[71:72]
	v_fma_f64 v[52:53], v[48:49], v[81:82], -v[6:7]
	v_fma_f64 v[48:49], v[40:41], v[89:90], v[50:51]
	v_fma_f64 v[20:21], v[28:29], v[93:94], v[61:62]
	v_fma_f64 v[54:55], v[16:17], v[85:86], -v[83:84]
	v_add_f64_e32 v[81:82], v[67:68], v[69:70]
	v_fma_f64 v[61:62], v[8:9], v[89:90], -v[63:64]
	v_fma_f64 v[63:64], v[14:15], v[93:94], -v[87:88]
	;; [unrolled: 1-line block ×3, first 2 shown]
	s_wait_alu 0xfffe
	v_mul_f64_e32 v[18:19], s[16:17], v[42:43]
	v_mul_f64_e32 v[46:47], s[2:3], v[42:43]
	v_mul_f64_e32 v[77:78], s[12:13], v[42:43]
	v_mul_f64_e32 v[75:76], s[22:23], v[42:43]
	v_add_f64_e64 v[28:29], v[38:39], -v[30:31]
	v_mul_f64_e32 v[16:17], s[2:3], v[79:80]
	v_mul_f64_e32 v[40:41], s[22:23], v[79:80]
	;; [unrolled: 1-line block ×4, first 2 shown]
	s_mov_b32 s3, 0x3fed1bb4
	v_fma_f64 v[50:51], v[24:25], v[97:98], v[2:3]
	v_fma_f64 v[24:25], v[26:27], v[101:102], v[65:66]
	v_add_f64_e32 v[14:15], v[52:53], v[54:55]
	v_add_f64_e64 v[91:92], v[48:49], -v[20:21]
	v_fma_f64 v[65:66], v[10:11], v[97:98], -v[99:100]
	v_add_f64_e32 v[87:88], v[61:62], v[63:64]
	v_fma_f64 v[6:7], v[44:45], s[18:19], v[18:19]
	v_fma_f64 v[105:106], v[44:45], s[14:15], v[46:47]
	;; [unrolled: 1-line block ×4, first 2 shown]
	v_mul_f64_e32 v[26:27], s[12:13], v[28:29]
	v_mul_f64_e32 v[89:90], s[26:27], v[28:29]
	v_mul_f64_e32 v[95:96], s[16:17], v[28:29]
	s_wait_alu 0xfffe
	v_mul_f64_e32 v[93:94], s[2:3], v[28:29]
	v_fma_f64 v[2:3], v[81:82], s[14:15], v[16:17]
	v_fma_f64 v[8:9], v[81:82], s[20:21], v[40:41]
	;; [unrolled: 1-line block ×4, first 2 shown]
	s_mov_b32 s27, 0xbfd207e7
	v_mul_f64_e32 v[97:98], s[22:23], v[91:92]
	v_mul_f64_e32 v[99:100], s[28:29], v[91:92]
	;; [unrolled: 1-line block ×3, first 2 shown]
	s_mov_b32 s17, 0x3fe14ced
	v_add_f64_e32 v[101:102], v[65:66], v[12:13]
	v_add_f64_e32 v[6:7], v[4:5], v[6:7]
	;; [unrolled: 1-line block ×5, first 2 shown]
	v_add_f64_e64 v[105:106], v[50:51], -v[24:25]
	s_wait_alu 0xfffe
	v_mul_f64_e32 v[107:108], s[26:27], v[91:92]
	v_fma_f64 v[10:11], v[14:15], s[6:7], v[26:27]
	v_fma_f64 v[119:120], v[14:15], s[24:25], v[89:90]
	;; [unrolled: 1-line block ×7, first 2 shown]
	v_add_f64_e32 v[2:3], v[2:3], v[6:7]
	v_add_f64_e32 v[6:7], v[8:9], v[115:116]
	;; [unrolled: 1-line block ×4, first 2 shown]
	v_mul_f64_e32 v[111:112], s[22:23], v[105:106]
	v_mul_f64_e32 v[109:110], s[26:27], v[105:106]
	;; [unrolled: 1-line block ×4, first 2 shown]
	v_fma_f64 v[132:133], v[87:88], s[24:25], v[107:108]
	v_add_f64_e32 v[2:3], v[10:11], v[2:3]
	v_add_f64_e32 v[6:7], v[119:120], v[6:7]
	;; [unrolled: 1-line block ×4, first 2 shown]
	v_fma_f64 v[117:118], v[101:102], s[20:21], v[111:112]
	v_fma_f64 v[119:120], v[101:102], s[24:25], v[109:110]
	;; [unrolled: 1-line block ×4, first 2 shown]
	v_add_f64_e32 v[2:3], v[126:127], v[2:3]
	v_add_f64_e32 v[126:127], v[128:129], v[6:7]
	;; [unrolled: 1-line block ×4, first 2 shown]
	s_delay_alu instid0(VALU_DEP_4) | instskip(NEXT) | instid1(VALU_DEP_4)
	v_add_f64_e32 v[6:7], v[119:120], v[2:3]
	v_add_f64_e32 v[8:9], v[121:122], v[126:127]
	s_delay_alu instid0(VALU_DEP_4) | instskip(NEXT) | instid1(VALU_DEP_4)
	v_add_f64_e32 v[10:11], v[117:118], v[128:129]
	v_add_f64_e32 v[2:3], v[124:125], v[130:131]
	v_and_b32_e32 v126, 0xffff, v134
	v_lshlrev_b32_e32 v127, 3, v135
	s_and_saveexec_b32 s1, s0
	s_cbranch_execz .LBB0_25
; %bb.24:
	v_add_f64_e32 v[117:118], v[4:5], v[73:74]
	v_mul_f64_e32 v[42:43], s[26:27], v[42:43]
	v_mul_f64_e32 v[119:120], s[6:7], v[44:45]
	v_mul_f64_e32 v[121:122], s[14:15], v[44:45]
	v_mul_f64_e32 v[124:125], s[20:21], v[44:45]
	v_mul_f64_e32 v[128:129], s[18:19], v[44:45]
	v_mul_f64_e32 v[79:80], s[16:17], v[79:80]
	v_mul_f64_e32 v[132:133], s[24:25], v[81:82]
	v_mul_f64_e32 v[134:135], s[20:21], v[81:82]
	v_mul_f64_e32 v[130:131], s[6:7], v[81:82]
	v_mul_f64_e32 v[136:137], s[14:15], v[81:82]
	v_mul_f64_e32 v[28:29], s[22:23], v[28:29]
	v_mul_f64_e32 v[91:92], s[2:3], v[91:92]
	v_add_f64_e32 v[117:118], v[117:118], v[67:68]
	v_fma_f64 v[138:139], v[44:45], s[24:25], v[42:43]
	v_fma_f64 v[42:43], v[44:45], s[24:25], -v[42:43]
	v_add_f64_e64 v[44:45], v[119:120], -v[77:78]
	v_add_f64_e64 v[46:47], v[121:122], -v[46:47]
	;; [unrolled: 1-line block ×4, first 2 shown]
	v_mul_f64_e32 v[119:120], s[24:25], v[14:15]
	v_mul_f64_e32 v[121:122], s[14:15], v[14:15]
	v_fma_f64 v[128:129], v[81:82], s[18:19], v[79:80]
	v_fma_f64 v[79:80], v[81:82], s[18:19], -v[79:80]
	v_add_f64_e64 v[83:84], v[132:133], -v[83:84]
	v_add_f64_e64 v[40:41], v[134:135], -v[40:41]
	v_mul_f64_e32 v[124:125], s[18:19], v[14:15]
	v_add_f64_e64 v[81:82], v[130:131], -v[85:86]
	v_add_f64_e64 v[16:17], v[136:137], -v[16:17]
	v_mul_f64_e32 v[130:131], s[6:7], v[87:88]
	v_mul_f64_e32 v[132:133], s[18:19], v[87:88]
	v_fma_f64 v[136:137], v[14:15], s[20:21], v[28:29]
	v_mul_f64_e32 v[134:135], s[24:25], v[87:88]
	v_add_f64_e32 v[117:118], v[117:118], v[52:53]
	v_add_f64_e32 v[85:86], v[4:5], v[138:139]
	;; [unrolled: 1-line block ×7, first 2 shown]
	v_add_f64_e64 v[89:90], v[119:120], -v[89:90]
	v_add_f64_e64 v[93:94], v[121:122], -v[93:94]
	;; [unrolled: 1-line block ×4, first 2 shown]
	v_add_f64_e32 v[117:118], v[117:118], v[61:62]
	v_add_f64_e32 v[85:86], v[128:129], v[85:86]
	;; [unrolled: 1-line block ×7, first 2 shown]
	v_mul_f64_e32 v[75:76], s[18:19], v[101:102]
	v_mul_f64_e32 v[79:80], s[20:21], v[101:102]
	;; [unrolled: 1-line block ×4, first 2 shown]
	v_add_f64_e32 v[77:78], v[117:118], v[65:66]
	v_mul_f64_e32 v[117:118], s[6:7], v[14:15]
	v_fma_f64 v[14:15], v[14:15], s[20:21], -v[28:29]
	v_add_f64_e64 v[28:29], v[124:125], -v[95:96]
	v_add_f64_e32 v[40:41], v[89:90], v[40:41]
	v_fma_f64 v[95:96], v[87:88], s[14:15], v[91:92]
	v_add_f64_e32 v[85:86], v[136:137], v[85:86]
	v_add_f64_e64 v[75:76], v[75:76], -v[113:114]
	v_add_f64_e64 v[79:80], v[79:80], -v[111:112]
	v_add_f64_e32 v[18:19], v[77:78], v[12:13]
	v_mul_f64_e32 v[77:78], s[20:21], v[87:88]
	v_add_f64_e64 v[26:27], v[117:118], -v[26:27]
	v_add_f64_e32 v[14:15], v[14:15], v[42:43]
	v_add_f64_e32 v[42:43], v[93:94], v[44:45]
	v_fma_f64 v[87:88], v[87:88], s[14:15], -v[91:92]
	v_add_f64_e64 v[91:92], v[134:135], -v[107:108]
	v_add_f64_e32 v[28:29], v[28:29], v[46:47]
	v_add_f64_e32 v[40:41], v[99:100], v[40:41]
	v_fma_f64 v[44:45], v[101:102], s[6:7], -v[83:84]
	v_add_f64_e64 v[46:47], v[81:82], -v[115:116]
	v_add_f64_e32 v[81:82], v[95:96], v[85:86]
	v_add_f64_e32 v[16:17], v[18:19], v[63:64]
	v_mul_f64_e32 v[18:19], s[24:25], v[101:102]
	v_add_f64_e64 v[77:78], v[77:78], -v[97:98]
	v_add_f64_e32 v[4:5], v[26:27], v[4:5]
	v_add_f64_e32 v[42:43], v[103:104], v[42:43]
	;; [unrolled: 1-line block ×3, first 2 shown]
	v_fma_f64 v[26:27], v[101:102], s[6:7], v[83:84]
	v_add_f64_e32 v[28:29], v[91:92], v[28:29]
	v_add_f64_e32 v[40:41], v[75:76], v[40:41]
	;; [unrolled: 1-line block ×3, first 2 shown]
	v_add_f64_e64 v[18:19], v[18:19], -v[109:110]
	v_add_f64_e32 v[4:5], v[77:78], v[4:5]
	v_add_f64_e32 v[42:43], v[79:80], v[42:43]
	;; [unrolled: 1-line block ×7, first 2 shown]
	v_mul_u32_u24_e32 v18, 0x108, v126
	s_delay_alu instid0(VALU_DEP_1) | instskip(NEXT) | instid1(VALU_DEP_4)
	v_add3_u32 v18, 0, v18, v127
	v_add_f64_e32 v[16:17], v[16:17], v[71:72]
	ds_store_2addr_b64 v18, v[10:11], v[8:9] offset0:24 offset1:27
	ds_store_2addr_b64 v18, v[40:41], v[42:43] offset0:6 offset1:9
	;; [unrolled: 1-line block ×4, first 2 shown]
	ds_store_2addr_b64 v18, v[16:17], v[4:5] offset1:3
	ds_store_b64 v18, v[6:7] offset:240
.LBB0_25:
	s_wait_alu 0xfffe
	s_or_b32 exec_lo, exec_lo, s1
	v_lshl_add_u32 v124, v56, 3, 0
	global_wb scope:SCOPE_SE
	s_wait_dscnt 0x0
	s_barrier_signal -1
	s_barrier_wait -1
	global_inv scope:SCOPE_SE
	ds_load_b64 v[18:19], v124
	ds_load_b64 v[40:41], v124 offset:2112
	ds_load_b64 v[42:43], v124 offset:4224
	;; [unrolled: 1-line block ×6, first 2 shown]
	v_cmp_gt_u32_e64 s1, 33, v56
	v_lshl_add_u32 v125, v60, 3, 0
                                        ; implicit-def: $vgpr4_vgpr5
                                        ; implicit-def: $vgpr14_vgpr15
                                        ; implicit-def: $vgpr16_vgpr17
	s_delay_alu instid0(VALU_DEP_2)
	s_and_saveexec_b32 s2, s1
	s_cbranch_execz .LBB0_27
; %bb.26:
	ds_load_b64 v[10:11], v124 offset:3960
	ds_load_b64 v[8:9], v124 offset:6072
	;; [unrolled: 1-line block ×5, first 2 shown]
	ds_load_b64 v[2:3], v125
	ds_load_b64 v[4:5], v124 offset:14520
.LBB0_27:
	s_wait_alu 0xfffe
	s_or_b32 exec_lo, exec_lo, s2
	v_add_f64_e64 v[73:74], v[73:74], -v[71:72]
	s_mov_b32 s21, 0xbfe14ced
	s_mov_b32 s20, 0xf8bb580b
	;; [unrolled: 1-line block ×4, first 2 shown]
	v_add_f64_e32 v[71:72], v[36:37], v[22:23]
	v_add_f64_e64 v[75:76], v[67:68], -v[69:70]
	s_mov_b32 s16, 0x8764f0ba
	s_mov_b32 s2, 0x640f44db
	;; [unrolled: 1-line block ×8, first 2 shown]
	v_add_f64_e32 v[67:68], v[34:35], v[32:33]
	v_add_f64_e64 v[85:86], v[52:53], -v[54:55]
	v_add_f64_e32 v[69:70], v[38:39], v[30:31]
	v_add_f64_e64 v[93:94], v[61:62], -v[63:64]
	;; [unrolled: 2-line block ×3, first 2 shown]
	v_add_f64_e32 v[65:66], v[50:51], v[24:25]
	global_wb scope:SCOPE_SE
	s_wait_dscnt 0x0
	s_barrier_signal -1
	s_barrier_wait -1
	global_inv scope:SCOPE_SE
	s_wait_alu 0xfffe
	v_mul_f64_e32 v[77:78], s[20:21], v[73:74]
	v_mul_f64_e32 v[79:80], s[6:7], v[73:74]
	v_mul_f64_e32 v[81:82], s[12:13], v[73:74]
	v_mul_f64_e32 v[83:84], s[22:23], v[73:74]
	v_mul_f64_e32 v[107:108], s[6:7], v[75:76]
	v_mul_f64_e32 v[109:110], s[22:23], v[75:76]
	v_mul_f64_e32 v[111:112], s[26:27], v[75:76]
	v_mul_f64_e32 v[113:114], s[28:29], v[75:76]
	s_mov_b32 s7, 0x3fed1bb4
	v_mul_f64_e32 v[87:88], s[12:13], v[85:86]
	v_mul_f64_e32 v[89:90], s[26:27], v[85:86]
	;; [unrolled: 1-line block ×3, first 2 shown]
	s_wait_alu 0xfffe
	v_mul_f64_e32 v[101:102], s[6:7], v[85:86]
	s_mov_b32 s27, 0xbfd207e7
	v_mul_f64_e32 v[103:104], s[20:21], v[93:94]
	s_wait_alu 0xfffe
	v_mul_f64_e32 v[105:106], s[26:27], v[93:94]
	s_mov_b32 s21, 0x3fe14ced
	v_fma_f64 v[52:53], v[71:72], s[16:17], -v[77:78]
	v_fma_f64 v[54:55], v[71:72], s[14:15], -v[79:80]
	;; [unrolled: 1-line block ×14, first 2 shown]
	v_add_f64_e32 v[52:53], v[0:1], v[52:53]
	v_add_f64_e32 v[54:55], v[0:1], v[54:55]
	;; [unrolled: 1-line block ×4, first 2 shown]
	v_mul_f64_e32 v[95:96], s[22:23], v[93:94]
	v_mul_f64_e32 v[97:98], s[28:29], v[93:94]
	v_add_f64_e32 v[52:53], v[61:62], v[52:53]
	v_add_f64_e32 v[54:55], v[115:116], v[54:55]
	;; [unrolled: 1-line block ×4, first 2 shown]
	v_mul_f64_e32 v[115:116], s[22:23], v[99:100]
	v_mul_f64_e32 v[117:118], s[26:27], v[99:100]
	s_wait_alu 0xfffe
	v_mul_f64_e32 v[119:120], s[20:21], v[99:100]
	v_mul_f64_e32 v[121:122], s[6:7], v[99:100]
	v_fma_f64 v[136:137], v[63:64], s[18:19], -v[95:96]
	v_fma_f64 v[138:139], v[63:64], s[2:3], -v[97:98]
	v_add_f64_e32 v[12:13], v[12:13], v[52:53]
	v_add_f64_e32 v[52:53], v[130:131], v[54:55]
	v_add_f64_e32 v[54:55], v[134:135], v[61:62]
	v_add_f64_e32 v[61:62], v[132:133], v[128:129]
	v_fma_f64 v[128:129], v[65:66], s[18:19], -v[115:116]
	v_fma_f64 v[130:131], v[65:66], s[24:25], -v[117:118]
	;; [unrolled: 1-line block ×4, first 2 shown]
	v_add_f64_e32 v[12:13], v[136:137], v[12:13]
	v_add_f64_e32 v[136:137], v[138:139], v[52:53]
	;; [unrolled: 1-line block ×4, first 2 shown]
	s_delay_alu instid0(VALU_DEP_4) | instskip(NEXT) | instid1(VALU_DEP_4)
	v_add_f64_e32 v[52:53], v[130:131], v[12:13]
	v_add_f64_e32 v[54:55], v[132:133], v[136:137]
	s_delay_alu instid0(VALU_DEP_4) | instskip(NEXT) | instid1(VALU_DEP_4)
	v_add_f64_e32 v[61:62], v[128:129], v[138:139]
	v_add_f64_e32 v[12:13], v[134:135], v[140:141]
	s_and_saveexec_b32 s28, s0
	s_cbranch_execz .LBB0_29
; %bb.28:
	v_add_f64_e32 v[36:37], v[0:1], v[36:37]
	v_mul_f64_e32 v[128:129], s[2:3], v[71:72]
	v_mul_f64_e32 v[130:131], s[18:19], v[71:72]
	;; [unrolled: 1-line block ×9, first 2 shown]
	v_add_f64_e32 v[34:35], v[36:37], v[34:35]
	v_mul_f64_e32 v[36:37], s[16:17], v[71:72]
	s_delay_alu instid0(VALU_DEP_2) | instskip(SKIP_1) | instid1(VALU_DEP_3)
	v_add_f64_e32 v[34:35], v[34:35], v[38:39]
	v_mul_f64_e32 v[38:39], s[14:15], v[71:72]
	v_add_f64_e32 v[36:37], v[77:78], v[36:37]
	v_add_f64_e32 v[77:78], v[81:82], v[128:129]
	v_fma_f64 v[81:82], v[71:72], s[24:25], v[73:74]
	v_fma_f64 v[71:72], v[71:72], s[24:25], -v[73:74]
	v_mul_f64_e32 v[73:74], s[24:25], v[69:70]
	v_mul_f64_e32 v[128:129], s[16:17], v[69:70]
	v_add_f64_e32 v[34:35], v[34:35], v[48:49]
	v_mul_f64_e32 v[48:49], s[14:15], v[67:68]
	v_add_f64_e32 v[38:39], v[79:80], v[38:39]
	v_add_f64_e32 v[79:80], v[83:84], v[130:131]
	v_mul_f64_e32 v[83:84], s[14:15], v[69:70]
	v_add_f64_e32 v[36:37], v[0:1], v[36:37]
	v_add_f64_e32 v[73:74], v[89:90], v[73:74]
	v_mul_f64_e32 v[130:131], s[24:25], v[63:64]
	v_fma_f64 v[89:90], v[69:70], s[18:19], v[85:86]
	v_add_f64_e32 v[34:35], v[34:35], v[50:51]
	v_mul_f64_e32 v[50:51], s[2:3], v[69:70]
	v_add_f64_e32 v[48:49], v[107:108], v[48:49]
	v_add_f64_e32 v[107:108], v[109:110], v[132:133]
	;; [unrolled: 1-line block ×4, first 2 shown]
	v_fma_f64 v[113:114], v[67:68], s[16:17], v[75:76]
	v_fma_f64 v[67:68], v[67:68], s[16:17], -v[75:76]
	v_add_f64_e32 v[38:39], v[0:1], v[38:39]
	v_add_f64_e32 v[75:76], v[0:1], v[77:78]
	;; [unrolled: 1-line block ×5, first 2 shown]
	v_mul_f64_e32 v[71:72], s[2:3], v[63:64]
	v_mul_f64_e32 v[81:82], s[16:17], v[63:64]
	v_add_f64_e32 v[83:84], v[101:102], v[83:84]
	v_fma_f64 v[69:70], v[69:70], s[18:19], -v[85:86]
	v_mul_f64_e32 v[85:86], s[14:15], v[65:66]
	v_add_f64_e32 v[24:25], v[34:35], v[24:25]
	v_mul_f64_e32 v[34:35], s[18:19], v[63:64]
	v_add_f64_e32 v[50:51], v[87:88], v[50:51]
	v_add_f64_e32 v[36:37], v[48:49], v[36:37]
	;; [unrolled: 1-line block ×3, first 2 shown]
	v_mul_f64_e32 v[91:92], s[12:13], v[99:100]
	v_add_f64_e32 v[38:39], v[107:108], v[38:39]
	v_add_f64_e32 v[48:49], v[109:110], v[75:76]
	;; [unrolled: 1-line block ×5, first 2 shown]
	v_mul_f64_e32 v[67:68], s[16:17], v[65:66]
	v_mul_f64_e32 v[79:80], s[18:19], v[65:66]
	v_add_f64_e32 v[71:72], v[97:98], v[71:72]
	v_add_f64_e32 v[81:82], v[103:104], v[81:82]
	v_fma_f64 v[97:98], v[63:64], s[14:15], v[93:94]
	v_fma_f64 v[63:64], v[63:64], s[14:15], -v[93:94]
	v_add_f64_e32 v[20:21], v[24:25], v[20:21]
	v_add_f64_e32 v[34:35], v[95:96], v[34:35]
	v_mul_f64_e32 v[24:25], s[24:25], v[65:66]
	v_add_f64_e32 v[36:37], v[50:51], v[36:37]
	v_add_f64_e32 v[95:96], v[105:106], v[130:131]
	;; [unrolled: 1-line block ×8, first 2 shown]
	v_fma_f64 v[75:76], v[65:66], s[2:3], v[91:92]
	v_fma_f64 v[65:66], v[65:66], s[2:3], -v[91:92]
	v_add_f64_e32 v[20:21], v[20:21], v[30:31]
	v_add_f64_e32 v[30:31], v[119:120], v[67:68]
	;; [unrolled: 1-line block ×18, first 2 shown]
	v_mul_u32_u24_e32 v22, 0x108, v126
	s_delay_alu instid0(VALU_DEP_1)
	v_add3_u32 v22, 0, v22, v127
	ds_store_2addr_b64 v22, v[61:62], v[54:55] offset0:24 offset1:27
	ds_store_2addr_b64 v22, v[30:31], v[32:33] offset0:6 offset1:9
	;; [unrolled: 1-line block ×4, first 2 shown]
	ds_store_2addr_b64 v22, v[20:21], v[24:25] offset1:3
	ds_store_b64 v22, v[52:53] offset:240
.LBB0_29:
	s_wait_alu 0xfffe
	s_or_b32 exec_lo, exec_lo, s28
	global_wb scope:SCOPE_SE
	s_wait_dscnt 0x0
	s_barrier_signal -1
	s_barrier_wait -1
	global_inv scope:SCOPE_SE
	ds_load_b64 v[0:1], v124
	ds_load_b64 v[48:49], v124 offset:2112
	ds_load_b64 v[38:39], v124 offset:4224
	;; [unrolled: 1-line block ×6, first 2 shown]
                                        ; implicit-def: $vgpr20_vgpr21
                                        ; implicit-def: $vgpr22_vgpr23
                                        ; implicit-def: $vgpr24_vgpr25
	s_and_saveexec_b32 s0, s1
	s_cbranch_execz .LBB0_31
; %bb.30:
	ds_load_b64 v[61:62], v124 offset:3960
	ds_load_b64 v[54:55], v124 offset:6072
	;; [unrolled: 1-line block ×5, first 2 shown]
	ds_load_b64 v[12:13], v125
	ds_load_b64 v[20:21], v124 offset:14520
.LBB0_31:
	s_wait_alu 0xfffe
	s_or_b32 exec_lo, exec_lo, s0
	v_mul_lo_u16 v30, 0xf9, v57
	s_mov_b32 s2, 0x37e14327
	s_mov_b32 s12, 0xe976ee23
	;; [unrolled: 1-line block ×4, first 2 shown]
	v_lshrrev_b16 v57, 13, v30
	s_mov_b32 s6, 0x429ad128
	s_mov_b32 s14, 0x36b3c0b5
	;; [unrolled: 1-line block ×4, first 2 shown]
	v_mul_lo_u16 v30, v57, 33
	s_mov_b32 s16, 0xaaaaaaaa
	s_mov_b32 s22, 0xb247c609
	;; [unrolled: 1-line block ×4, first 2 shown]
	v_sub_nc_u16 v30, v56, v30
	s_mov_b32 s23, 0x3fd5d0dc
	s_mov_b32 s19, 0x3fe77f67
	;; [unrolled: 1-line block ×4, first 2 shown]
	v_and_b32_e32 v126, 0xff, v30
	s_wait_alu 0xfffe
	s_mov_b32 s20, s18
	s_mov_b32 s24, s22
	;; [unrolled: 1-line block ×4, first 2 shown]
	v_mul_u32_u24_e32 v30, 6, v126
	v_and_b32_e32 v57, 0xffff, v57
	s_delay_alu instid0(VALU_DEP_2) | instskip(NEXT) | instid1(VALU_DEP_2)
	v_lshlrev_b32_e32 v30, 4, v30
	v_mul_u32_u24_e32 v57, 0x738, v57
	s_clause 0x5
	global_load_b128 v[69:72], v30, s[4:5] offset:480
	global_load_b128 v[73:76], v30, s[4:5] offset:496
	;; [unrolled: 1-line block ×6, first 2 shown]
	v_and_b32_e32 v30, 0xffff, v60
	s_delay_alu instid0(VALU_DEP_1) | instskip(NEXT) | instid1(VALU_DEP_1)
	v_mul_u32_u24_e32 v30, 0xf83f, v30
	v_lshrrev_b32_e32 v30, 21, v30
	s_delay_alu instid0(VALU_DEP_1) | instskip(NEXT) | instid1(VALU_DEP_1)
	v_mul_lo_u16 v30, v30, 33
	v_sub_nc_u16 v30, v60, v30
	s_delay_alu instid0(VALU_DEP_1) | instskip(NEXT) | instid1(VALU_DEP_1)
	v_and_b32_e32 v127, 0xffff, v30
	v_mul_u32_u24_e32 v30, 6, v127
	s_delay_alu instid0(VALU_DEP_1)
	v_lshlrev_b32_e32 v30, 4, v30
	s_clause 0x5
	global_load_b128 v[93:96], v30, s[4:5] offset:480
	global_load_b128 v[97:100], v30, s[4:5] offset:496
	;; [unrolled: 1-line block ×6, first 2 shown]
	global_wb scope:SCOPE_SE
	s_wait_loadcnt_dscnt 0x0
	s_barrier_signal -1
	s_barrier_wait -1
	global_inv scope:SCOPE_SE
	v_mul_f64_e32 v[30:31], v[48:49], v[71:72]
	v_mul_f64_e32 v[32:33], v[38:39], v[75:76]
	;; [unrolled: 1-line block ×12, first 2 shown]
	v_fma_f64 v[30:31], v[40:41], v[69:70], -v[30:31]
	v_fma_f64 v[34:35], v[42:43], v[73:74], -v[32:33]
	;; [unrolled: 1-line block ×4, first 2 shown]
	v_fma_f64 v[46:47], v[48:49], v[69:70], v[71:72]
	v_fma_f64 v[38:39], v[38:39], v[73:74], v[75:76]
	v_fma_f64 v[28:29], v[28:29], v[85:86], -v[119:120]
	v_fma_f64 v[40:41], v[65:66], v[85:86], v[87:88]
	v_fma_f64 v[26:27], v[26:27], v[89:90], -v[121:122]
	v_fma_f64 v[44:45], v[67:68], v[81:82], v[83:84]
	v_fma_f64 v[42:43], v[50:51], v[89:90], v[91:92]
	;; [unrolled: 1-line block ×3, first 2 shown]
	v_mul_f64_e32 v[85:86], v[52:53], v[103:104]
	v_mul_f64_e32 v[87:88], v[6:7], v[103:104]
	;; [unrolled: 1-line block ×6, first 2 shown]
	v_add_f64_e32 v[50:51], v[30:31], v[32:33]
	v_add_f64_e32 v[63:64], v[34:35], v[36:37]
	;; [unrolled: 1-line block ×3, first 2 shown]
	v_add_f64_e64 v[65:66], v[38:39], -v[44:45]
	v_add_f64_e64 v[69:70], v[42:43], -v[40:41]
	;; [unrolled: 1-line block ×3, first 2 shown]
	v_fma_f64 v[24:25], v[24:25], v[105:106], v[91:92]
	v_fma_f64 v[20:21], v[20:21], v[113:114], v[115:116]
	v_add_f64_e32 v[73:74], v[63:64], v[50:51]
	v_add_f64_e64 v[75:76], v[50:51], -v[67:68]
	v_add_f64_e64 v[77:78], v[69:70], -v[65:66]
	;; [unrolled: 1-line block ×3, first 2 shown]
	v_add_f64_e32 v[65:66], v[69:70], v[65:66]
	v_add_f64_e64 v[69:70], v[71:72], -v[69:70]
	v_add_f64_e32 v[73:74], v[67:68], v[73:74]
	v_add_f64_e64 v[67:68], v[67:68], -v[63:64]
	v_mul_f64_e32 v[75:76], s[2:3], v[75:76]
	v_mul_f64_e32 v[77:78], s[12:13], v[77:78]
	v_mul_f64_e32 v[81:82], s[6:7], v[79:80]
	v_add_f64_e32 v[83:84], v[18:19], v[73:74]
	v_add_f64_e64 v[18:19], v[63:64], -v[50:51]
	v_mul_f64_e32 v[50:51], s[14:15], v[67:68]
	v_add_f64_e32 v[63:64], v[65:66], v[71:72]
	v_fma_f64 v[65:66], v[67:68], s[14:15], v[75:76]
	v_fma_f64 v[67:68], v[69:70], s[22:23], v[77:78]
	v_fma_f64 v[71:72], v[79:80], s[6:7], -v[77:78]
	s_wait_alu 0xfffe
	v_fma_f64 v[69:70], v[69:70], s[24:25], -v[81:82]
	v_mul_f64_e32 v[77:78], v[10:11], v[95:96]
	v_mul_f64_e32 v[79:80], v[54:55], v[99:100]
	;; [unrolled: 1-line block ×4, first 2 shown]
	v_fma_f64 v[73:74], v[73:74], s[16:17], v[83:84]
	v_fma_f64 v[75:76], v[18:19], s[20:21], -v[75:76]
	v_fma_f64 v[18:19], v[18:19], s[18:19], -v[50:51]
	v_mul_f64_e32 v[50:51], v[61:62], v[95:96]
	v_mul_f64_e32 v[95:96], v[22:23], v[111:112]
	v_fma_f64 v[107:108], v[63:64], s[26:27], v[67:68]
	v_fma_f64 v[71:72], v[63:64], s[26:27], v[71:72]
	;; [unrolled: 1-line block ×5, first 2 shown]
	v_fma_f64 v[54:55], v[6:7], v[101:102], -v[85:86]
	v_fma_f64 v[69:70], v[22:23], v[109:110], v[99:100]
	v_fma_f64 v[22:23], v[4:5], v[113:114], -v[103:104]
	v_add_f64_e32 v[117:118], v[65:66], v[73:74]
	v_add_f64_e32 v[75:76], v[75:76], v[73:74]
	;; [unrolled: 1-line block ×3, first 2 shown]
	v_fma_f64 v[18:19], v[10:11], v[93:94], -v[50:51]
	v_fma_f64 v[50:51], v[8:9], v[97:98], -v[79:80]
	v_fma_f64 v[65:66], v[52:53], v[101:102], v[87:88]
	v_fma_f64 v[52:53], v[16:17], v[105:106], -v[89:90]
	v_fma_f64 v[67:68], v[14:15], v[109:110], -v[95:96]
	v_add_f64_e32 v[4:5], v[107:108], v[117:118]
	v_add_f64_e32 v[6:7], v[111:112], v[75:76]
	v_add_f64_e64 v[8:9], v[73:74], -v[71:72]
	v_add_f64_e32 v[10:11], v[71:72], v[73:74]
	v_add_f64_e64 v[14:15], v[75:76], -v[111:112]
	v_add_f64_e64 v[16:17], v[117:118], -v[107:108]
	v_lshlrev_b32_e32 v71, 3, v126
	s_delay_alu instid0(VALU_DEP_1)
	v_add3_u32 v71, 0, v57, v71
	v_lshl_add_u32 v57, v127, 3, 0
	ds_store_2addr_b64 v71, v[83:84], v[4:5] offset1:33
	ds_store_2addr_b64 v71, v[6:7], v[8:9] offset0:66 offset1:99
	ds_store_2addr_b64 v71, v[10:11], v[14:15] offset0:132 offset1:165
	ds_store_b64 v71, v[16:17] offset:1584
	s_and_saveexec_b32 s0, s1
	s_cbranch_execz .LBB0_33
; %bb.32:
	v_add_f64_e32 v[4:5], v[50:51], v[67:68]
	v_add_f64_e32 v[6:7], v[18:19], v[22:23]
	v_add_f64_e64 v[8:9], v[24:25], -v[65:66]
	v_add_f64_e64 v[10:11], v[63:64], -v[69:70]
	v_add_f64_e32 v[14:15], v[54:55], v[52:53]
	v_add_f64_e64 v[16:17], v[61:62], -v[20:21]
	v_add_f64_e32 v[72:73], v[4:5], v[6:7]
	s_delay_alu instid0(VALU_DEP_4) | instskip(NEXT) | instid1(VALU_DEP_4)
	v_add_f64_e64 v[74:75], v[8:9], -v[10:11]
	v_add_f64_e64 v[76:77], v[6:7], -v[14:15]
	s_delay_alu instid0(VALU_DEP_4)
	v_add_f64_e64 v[78:79], v[10:11], -v[16:17]
	v_add_f64_e32 v[10:11], v[8:9], v[10:11]
	v_add_f64_e64 v[8:9], v[16:17], -v[8:9]
	v_add_f64_e32 v[72:73], v[14:15], v[72:73]
	v_add_f64_e64 v[14:15], v[14:15], -v[4:5]
	v_add_f64_e64 v[4:5], v[4:5], -v[6:7]
	v_mul_f64_e32 v[6:7], s[12:13], v[74:75]
	v_mul_f64_e32 v[74:75], s[2:3], v[76:77]
	;; [unrolled: 1-line block ×3, first 2 shown]
	v_add_f64_e32 v[10:11], v[10:11], v[16:17]
	v_add_f64_e32 v[2:3], v[2:3], v[72:73]
	v_mul_f64_e32 v[80:81], s[14:15], v[14:15]
	v_fma_f64 v[16:17], v[8:9], s[22:23], v[6:7]
	v_fma_f64 v[14:15], v[14:15], s[14:15], v[74:75]
	v_fma_f64 v[82:83], v[4:5], s[20:21], -v[74:75]
	v_fma_f64 v[8:9], v[8:9], s[24:25], -v[76:77]
	;; [unrolled: 1-line block ×3, first 2 shown]
	v_fma_f64 v[72:73], v[72:73], s[16:17], v[2:3]
	v_fma_f64 v[4:5], v[4:5], s[18:19], -v[80:81]
	v_fma_f64 v[16:17], v[10:11], s[26:27], v[16:17]
	v_fma_f64 v[8:9], v[10:11], s[26:27], v[8:9]
	;; [unrolled: 1-line block ×3, first 2 shown]
	v_add_f64_e32 v[14:15], v[14:15], v[72:73]
	v_add_f64_e32 v[10:11], v[82:83], v[72:73]
	v_add_f64_e32 v[4:5], v[4:5], v[72:73]
	s_delay_alu instid0(VALU_DEP_3) | instskip(NEXT) | instid1(VALU_DEP_3)
	v_add_f64_e32 v[76:77], v[16:17], v[14:15]
	v_add_f64_e64 v[72:73], v[10:11], -v[8:9]
	s_delay_alu instid0(VALU_DEP_3)
	v_add_f64_e64 v[74:75], v[4:5], -v[6:7]
	v_add_f64_e32 v[8:9], v[8:9], v[10:11]
	v_add_f64_e32 v[4:5], v[6:7], v[4:5]
	v_add_f64_e64 v[6:7], v[14:15], -v[16:17]
	v_add_nc_u32_e32 v10, 0x3000, v57
	ds_store_2addr_b64 v10, v[2:3], v[76:77] offset0:81 offset1:114
	ds_store_2addr_b64 v10, v[8:9], v[74:75] offset0:147 offset1:180
	;; [unrolled: 1-line block ×3, first 2 shown]
	ds_store_b64 v57, v[6:7] offset:14520
.LBB0_33:
	s_wait_alu 0xfffe
	s_or_b32 exec_lo, exec_lo, s0
	v_add_f64_e32 v[2:3], v[46:47], v[48:49]
	v_add_f64_e32 v[4:5], v[38:39], v[44:45]
	v_add_f64_e64 v[6:7], v[34:35], -v[36:37]
	v_add_f64_e32 v[8:9], v[40:41], v[42:43]
	v_add_f64_e64 v[10:11], v[26:27], -v[28:29]
	v_add_f64_e64 v[14:15], v[30:31], -v[32:33]
	global_wb scope:SCOPE_SE
	s_wait_dscnt 0x0
	s_barrier_signal -1
	s_barrier_wait -1
	global_inv scope:SCOPE_SE
	v_add_f64_e32 v[16:17], v[4:5], v[2:3]
	v_add_f64_e64 v[26:27], v[2:3], -v[8:9]
	v_add_f64_e64 v[28:29], v[10:11], -v[6:7]
	;; [unrolled: 1-line block ×3, first 2 shown]
	v_add_f64_e32 v[6:7], v[10:11], v[6:7]
	v_add_f64_e64 v[10:11], v[14:15], -v[10:11]
	v_add_f64_e32 v[16:17], v[8:9], v[16:17]
	v_add_f64_e64 v[8:9], v[8:9], -v[4:5]
	v_mul_f64_e32 v[26:27], s[2:3], v[26:27]
	v_mul_f64_e32 v[28:29], s[12:13], v[28:29]
	v_mul_f64_e32 v[32:33], s[6:7], v[30:31]
	v_add_f64_e32 v[34:35], v[0:1], v[16:17]
	v_add_f64_e64 v[0:1], v[4:5], -v[2:3]
	v_mul_f64_e32 v[2:3], s[14:15], v[8:9]
	v_add_f64_e32 v[4:5], v[6:7], v[14:15]
	v_fma_f64 v[6:7], v[8:9], s[14:15], v[26:27]
	v_fma_f64 v[8:9], v[10:11], s[22:23], v[28:29]
	v_fma_f64 v[14:15], v[30:31], s[6:7], -v[28:29]
	v_fma_f64 v[10:11], v[10:11], s[24:25], -v[32:33]
	v_add_nc_u32_e32 v28, 0x2b00, v124
	v_fma_f64 v[16:17], v[16:17], s[16:17], v[34:35]
	v_fma_f64 v[26:27], v[0:1], s[20:21], -v[26:27]
	v_fma_f64 v[0:1], v[0:1], s[18:19], -v[2:3]
	v_fma_f64 v[2:3], v[4:5], s[26:27], v[8:9]
	v_fma_f64 v[8:9], v[4:5], s[26:27], v[14:15]
	;; [unrolled: 1-line block ×3, first 2 shown]
	v_add_f64_e32 v[6:7], v[6:7], v[16:17]
	v_add_f64_e32 v[10:11], v[26:27], v[16:17]
	v_add_f64_e32 v[0:1], v[0:1], v[16:17]
	v_add_nc_u32_e32 v26, 0xe00, v124
	v_add_nc_u32_e32 v27, 0x1c80, v124
	v_add_f64_e64 v[29:30], v[6:7], -v[2:3]
	v_add_f64_e64 v[31:32], v[10:11], -v[4:5]
	v_add_f64_e32 v[36:37], v[8:9], v[0:1]
	v_add_f64_e64 v[38:39], v[0:1], -v[8:9]
	v_add_f64_e32 v[40:41], v[4:5], v[10:11]
	v_add_f64_e32 v[42:43], v[2:3], v[6:7]
	ds_load_b64 v[14:15], v124
	ds_load_b64 v[16:17], v125
	ds_load_2addr_b64 v[0:3], v26 offset0:14 offset1:245
	ds_load_2addr_b64 v[4:7], v27 offset0:12 offset1:243
	;; [unrolled: 1-line block ×3, first 2 shown]
	global_wb scope:SCOPE_SE
	s_wait_dscnt 0x0
	s_barrier_signal -1
	s_barrier_wait -1
	global_inv scope:SCOPE_SE
	ds_store_2addr_b64 v71, v[34:35], v[29:30] offset1:33
	ds_store_2addr_b64 v71, v[31:32], v[36:37] offset0:66 offset1:99
	ds_store_2addr_b64 v71, v[38:39], v[40:41] offset0:132 offset1:165
	ds_store_b64 v71, v[42:43] offset:1584
	s_and_saveexec_b32 s0, s1
	s_cbranch_execz .LBB0_35
; %bb.34:
	v_add_f64_e32 v[20:21], v[61:62], v[20:21]
	v_add_f64_e32 v[29:30], v[63:64], v[69:70]
	;; [unrolled: 1-line block ×3, first 2 shown]
	v_add_f64_e64 v[31:32], v[50:51], -v[67:68]
	v_add_f64_e64 v[33:34], v[52:53], -v[54:55]
	;; [unrolled: 1-line block ×3, first 2 shown]
	s_mov_b32 s6, 0x36b3c0b5
	s_mov_b32 s7, 0x3fac98ee
	;; [unrolled: 1-line block ×6, first 2 shown]
	v_add_f64_e32 v[22:23], v[29:30], v[20:21]
	v_add_f64_e64 v[35:36], v[20:21], -v[24:25]
	v_add_f64_e64 v[37:38], v[24:25], -v[29:30]
	;; [unrolled: 1-line block ×6, first 2 shown]
	v_add_f64_e32 v[22:23], v[24:25], v[22:23]
	v_add_f64_e32 v[24:25], v[33:34], v[31:32]
	v_mul_f64_e32 v[31:32], s[2:3], v[35:36]
	s_mov_b32 s2, 0x429ad128
	s_wait_alu 0xfffe
	v_mul_f64_e32 v[33:34], s[6:7], v[37:38]
	v_mul_f64_e32 v[35:36], s[12:13], v[39:40]
	s_mov_b32 s3, 0x3febfeb5
	s_mov_b32 s12, 0xaaaaaaaa
	s_wait_alu 0xfffe
	v_mul_f64_e32 v[39:40], s[2:3], v[41:42]
	s_mov_b32 s13, 0xbff2aaaa
	v_add_f64_e32 v[12:13], v[12:13], v[22:23]
	v_add_f64_e32 v[18:19], v[24:25], v[18:19]
	v_fma_f64 v[24:25], v[37:38], s[6:7], v[31:32]
	v_fma_f64 v[33:34], v[20:21], s[14:15], -v[33:34]
	s_mov_b32 s15, 0xbfe77f67
	v_fma_f64 v[37:38], v[29:30], s[16:17], v[35:36]
	s_mov_b32 s17, 0xbfd5d0dc
	v_fma_f64 v[35:36], v[41:42], s[2:3], -v[35:36]
	s_wait_alu 0xfffe
	v_fma_f64 v[29:30], v[29:30], s[16:17], -v[39:40]
	v_fma_f64 v[20:21], v[20:21], s[14:15], -v[31:32]
	s_mov_b32 s2, 0x37c3f68c
	s_mov_b32 s3, 0x3fdc38aa
	v_fma_f64 v[22:23], v[22:23], s[12:13], v[12:13]
	s_wait_alu 0xfffe
	v_fma_f64 v[31:32], v[18:19], s[2:3], v[37:38]
	v_fma_f64 v[35:36], v[18:19], s[2:3], v[35:36]
	;; [unrolled: 1-line block ×3, first 2 shown]
	s_delay_alu instid0(VALU_DEP_4) | instskip(SKIP_2) | instid1(VALU_DEP_3)
	v_add_f64_e32 v[24:25], v[24:25], v[22:23]
	v_add_f64_e32 v[20:21], v[20:21], v[22:23]
	;; [unrolled: 1-line block ×3, first 2 shown]
	v_add_f64_e64 v[29:30], v[24:25], -v[31:32]
	s_delay_alu instid0(VALU_DEP_3) | instskip(NEXT) | instid1(VALU_DEP_3)
	v_add_f64_e64 v[33:34], v[20:21], -v[18:19]
	v_add_f64_e32 v[37:38], v[35:36], v[22:23]
	v_add_f64_e64 v[22:23], v[22:23], -v[35:36]
	v_add_f64_e32 v[18:19], v[18:19], v[20:21]
	v_add_f64_e32 v[20:21], v[31:32], v[24:25]
	v_add_nc_u32_e32 v24, 0x3000, v57
	ds_store_2addr_b64 v24, v[12:13], v[29:30] offset0:81 offset1:114
	ds_store_2addr_b64 v24, v[33:34], v[37:38] offset0:147 offset1:180
	;; [unrolled: 1-line block ×3, first 2 shown]
	ds_store_b64 v57, v[20:21] offset:14520
.LBB0_35:
	s_wait_alu 0xfffe
	s_or_b32 exec_lo, exec_lo, s0
	v_mul_u32_u24_e32 v12, 3, v56
	global_wb scope:SCOPE_SE
	s_wait_dscnt 0x0
	s_barrier_signal -1
	s_barrier_wait -1
	global_inv scope:SCOPE_SE
	v_lshlrev_b32_e32 v12, 4, v12
	s_clause 0x2
	global_load_b128 v[18:21], v12, s[4:5] offset:3648
	global_load_b128 v[22:25], v12, s[4:5] offset:3664
	;; [unrolled: 1-line block ×3, first 2 shown]
	ds_load_2addr_b64 v[33:36], v26 offset0:14 offset1:245
	ds_load_2addr_b64 v[37:40], v27 offset0:12 offset1:243
	;; [unrolled: 1-line block ×3, first 2 shown]
	s_wait_loadcnt_dscnt 0x202
	v_mul_f64_e32 v[12:13], v[33:34], v[20:21]
	s_wait_loadcnt_dscnt 0x101
	v_mul_f64_e32 v[45:46], v[37:38], v[24:25]
	;; [unrolled: 2-line block ×3, first 2 shown]
	v_mul_f64_e32 v[49:50], v[35:36], v[20:21]
	v_mul_f64_e32 v[51:52], v[39:40], v[24:25]
	;; [unrolled: 1-line block ×9, first 2 shown]
	v_fma_f64 v[0:1], v[0:1], v[18:19], -v[12:13]
	v_fma_f64 v[4:5], v[4:5], v[22:23], -v[45:46]
	;; [unrolled: 1-line block ×6, first 2 shown]
	v_fma_f64 v[12:13], v[33:34], v[18:19], v[61:62]
	v_fma_f64 v[33:34], v[37:38], v[22:23], v[63:64]
	;; [unrolled: 1-line block ×6, first 2 shown]
	ds_load_b64 v[24:25], v124
	ds_load_b64 v[29:30], v125
	global_wb scope:SCOPE_SE
	s_wait_dscnt 0x0
	s_barrier_signal -1
	s_barrier_wait -1
	global_inv scope:SCOPE_SE
	v_add_f64_e64 v[4:5], v[14:15], -v[4:5]
	v_add_f64_e64 v[8:9], v[0:1], -v[8:9]
	;; [unrolled: 1-line block ×8, first 2 shown]
	v_fma_f64 v[14:15], v[14:15], 2.0, -v[4:5]
	v_fma_f64 v[0:1], v[0:1], 2.0, -v[8:9]
	;; [unrolled: 1-line block ×6, first 2 shown]
	v_add_f64_e64 v[33:34], v[4:5], -v[33:34]
	v_fma_f64 v[29:30], v[29:30], 2.0, -v[20:21]
	v_fma_f64 v[18:19], v[18:19], 2.0, -v[22:23]
	v_add_f64_e64 v[22:23], v[6:7], -v[22:23]
	v_add_f64_e32 v[35:36], v[31:32], v[8:9]
	v_add_f64_e32 v[39:40], v[20:21], v[10:11]
	v_add_f64_e64 v[0:1], v[14:15], -v[0:1]
	v_add_f64_e64 v[2:3], v[16:17], -v[2:3]
	;; [unrolled: 1-line block ×3, first 2 shown]
	v_fma_f64 v[4:5], v[4:5], 2.0, -v[33:34]
	v_add_f64_e64 v[18:19], v[29:30], -v[18:19]
	v_fma_f64 v[6:7], v[6:7], 2.0, -v[22:23]
	v_fma_f64 v[20:21], v[20:21], 2.0, -v[39:40]
	v_fma_f64 v[8:9], v[14:15], 2.0, -v[0:1]
	v_fma_f64 v[10:11], v[16:17], 2.0, -v[2:3]
	v_fma_f64 v[16:17], v[31:32], 2.0, -v[35:36]
	ds_store_2addr_b64 v26, v[0:1], v[33:34] offset0:14 offset1:245
	ds_store_2addr_b64 v28, v[2:3], v[22:23] offset0:10 offset1:241
	ds_store_2addr_b64 v124, v[8:9], v[4:5] offset1:231
	ds_store_2addr_b64 v27, v[10:11], v[6:7] offset0:12 offset1:243
	v_fma_f64 v[24:25], v[24:25], 2.0, -v[37:38]
	v_fma_f64 v[29:30], v[29:30], 2.0, -v[18:19]
	global_wb scope:SCOPE_SE
	s_wait_dscnt 0x0
	s_barrier_signal -1
	s_barrier_wait -1
	global_inv scope:SCOPE_SE
	ds_load_2addr_b64 v[4:7], v27 offset0:12 offset1:243
	ds_load_b64 v[14:15], v124
	ds_load_b64 v[12:13], v125
	ds_load_2addr_b64 v[0:3], v26 offset0:14 offset1:245
	ds_load_2addr_b64 v[8:11], v28 offset0:10 offset1:241
	global_wb scope:SCOPE_SE
	s_wait_dscnt 0x0
	s_barrier_signal -1
	s_barrier_wait -1
	global_inv scope:SCOPE_SE
	ds_store_2addr_b64 v124, v[24:25], v[16:17] offset1:231
	ds_store_2addr_b64 v26, v[37:38], v[35:36] offset0:14 offset1:245
	ds_store_2addr_b64 v27, v[29:30], v[20:21] offset0:12 offset1:243
	;; [unrolled: 1-line block ×3, first 2 shown]
	global_wb scope:SCOPE_SE
	s_wait_dscnt 0x0
	s_barrier_signal -1
	s_barrier_wait -1
	global_inv scope:SCOPE_SE
	s_and_saveexec_b32 s0, vcc_lo
	s_cbranch_execz .LBB0_37
; %bb.36:
	v_dual_mov_b32 v57, 0 :: v_dual_add_nc_u32 v32, 0x1c80, v124
	v_mad_co_u64_u32 v[62:63], null, s8, v123, 0
	v_add_nc_u32_e32 v69, 0x483, v56
	s_delay_alu instid0(VALU_DEP_3) | instskip(SKIP_1) | instid1(VALU_DEP_2)
	v_dual_mov_b32 v61, v57 :: v_dual_add_nc_u32 v36, 0x2b00, v124
	v_lshlrev_b64_e32 v[16:17], 4, v[56:57]
	v_lshlrev_b64_e32 v[18:19], 4, v[60:61]
	v_mad_co_u64_u32 v[60:61], null, s8, v56, 0
	s_delay_alu instid0(VALU_DEP_3) | instskip(SKIP_1) | instid1(VALU_DEP_4)
	v_add_co_u32 v28, vcc_lo, s4, v16
	s_wait_alu 0xfffd
	v_add_co_ci_u32_e32 v29, vcc_lo, s5, v17, vcc_lo
	s_delay_alu instid0(VALU_DEP_4)
	v_add_co_u32 v20, vcc_lo, s4, v18
	s_wait_alu 0xfffd
	v_add_co_ci_u32_e32 v21, vcc_lo, s5, v19, vcc_lo
	v_dual_mov_b32 v57, v61 :: v_dual_add_nc_u32 v40, 0xe00, v124
	s_clause 0x3
	global_load_b128 v[16:19], v[28:29], off offset:14736
	global_load_b128 v[20:23], v[20:21], off offset:14736
	;; [unrolled: 1-line block ×4, first 2 shown]
	ds_load_2addr_b64 v[32:35], v32 offset0:12 offset1:243
	ds_load_2addr_b64 v[36:39], v36 offset0:10 offset1:241
	ds_load_b64 v[52:53], v125
	ds_load_b64 v[54:55], v124
	ds_load_2addr_b64 v[40:43], v40 offset0:14 offset1:245
	s_wait_loadcnt 0x3
	v_mul_f64_e32 v[44:45], v[4:5], v[18:19]
	s_wait_dscnt 0x4
	v_mul_f64_e32 v[18:19], v[32:33], v[18:19]
	s_wait_loadcnt 0x2
	v_mul_f64_e32 v[46:47], v[6:7], v[22:23]
	v_mul_f64_e32 v[22:23], v[34:35], v[22:23]
	s_wait_loadcnt 0x1
	v_mul_f64_e32 v[48:49], v[8:9], v[26:27]
	s_wait_dscnt 0x3
	v_mul_f64_e32 v[26:27], v[36:37], v[26:27]
	s_wait_loadcnt 0x0
	v_mul_f64_e32 v[50:51], v[10:11], v[30:31]
	v_mul_f64_e32 v[30:31], v[38:39], v[30:31]
	v_fma_f64 v[32:33], v[32:33], v[16:17], v[44:45]
	v_fma_f64 v[4:5], v[4:5], v[16:17], -v[18:19]
	v_fma_f64 v[16:17], v[34:35], v[20:21], v[46:47]
	v_fma_f64 v[18:19], v[6:7], v[20:21], -v[22:23]
	;; [unrolled: 2-line block ×4, first 2 shown]
	v_mov_b32_e32 v6, v63
	v_mad_co_u64_u32 v[66:67], null, s8, v69, 0
	v_add_nc_u32_e32 v68, 0x39c, v56
	v_mad_co_u64_u32 v[7:8], null, s9, v56, v[57:58]
	s_delay_alu instid0(VALU_DEP_3) | instskip(NEXT) | instid1(VALU_DEP_3)
	v_dual_mov_b32 v9, v67 :: v_dual_add_nc_u32 v70, 0x1ce, v56
	v_mad_co_u64_u32 v[64:65], null, s8, v68, 0
	s_delay_alu instid0(VALU_DEP_3) | instskip(SKIP_1) | instid1(VALU_DEP_4)
	v_mov_b32_e32 v61, v7
	v_add_nc_u32_e32 v71, 0x2b5, v56
	v_lshrrev_b32_e32 v72, 2, v70
	v_mad_co_u64_u32 v[10:11], null, s9, v123, v[6:7]
	v_mov_b32_e32 v8, v65
	s_delay_alu instid0(VALU_DEP_4) | instskip(NEXT) | instid1(VALU_DEP_4)
	v_lshrrev_b32_e32 v73, 2, v71
	v_mul_hi_u32 v30, 0x23769481, v72
	s_delay_alu instid0(VALU_DEP_3) | instskip(NEXT) | instid1(VALU_DEP_3)
	v_mad_co_u64_u32 v[28:29], null, s9, v68, v[8:9]
	v_mul_hi_u32 v31, 0x23769481, v73
	v_mad_co_u64_u32 v[8:9], null, s9, v69, v[9:10]
	s_delay_alu instid0(VALU_DEP_4)
	v_lshrrev_b32_e32 v6, 5, v30
	v_lshlrev_b64_e32 v[29:30], 4, v[60:61]
	v_add_co_u32 v68, vcc_lo, s10, v58
	v_add_f64_e64 v[4:5], v[14:15], -v[4:5]
	v_lshrrev_b32_e32 v9, 5, v31
	v_mad_u32_u24 v31, 0x39c, v6, v70
	s_wait_dscnt 0x1
	v_add_f64_e64 v[6:7], v[54:55], -v[32:33]
	v_mov_b32_e32 v63, v10
	v_add_f64_e64 v[10:11], v[52:53], -v[16:17]
	v_mad_u32_u24 v70, 0x39c, v9, v71
	v_mad_co_u64_u32 v[36:37], null, s8, v31, 0
	v_mov_b32_e32 v67, v8
	v_add_f64_e64 v[8:9], v[12:13], -v[18:19]
	s_wait_dscnt 0x0
	v_add_f64_e64 v[18:19], v[40:41], -v[20:21]
	v_add_f64_e64 v[16:17], v[0:1], -v[22:23]
	;; [unrolled: 1-line block ×4, first 2 shown]
	v_mov_b32_e32 v24, v37
	v_mad_co_u64_u32 v[38:39], null, s8, v70, 0
	v_dual_mov_b32 v65, v28 :: v_dual_add_nc_u32 v32, 0x39c, v70
	v_add_nc_u32_e32 v28, 0x39c, v31
	s_wait_alu 0xfffd
	v_add_co_ci_u32_e32 v69, vcc_lo, s11, v59, vcc_lo
	v_lshlrev_b64_e32 v[34:35], 4, v[62:63]
	v_mad_co_u64_u32 v[56:57], null, s8, v32, 0
	v_mad_co_u64_u32 v[50:51], null, s8, v28, 0
	v_mov_b32_e32 v25, v39
	v_add_co_u32 v48, vcc_lo, v68, v29
	s_wait_alu 0xfffd
	v_add_co_ci_u32_e32 v49, vcc_lo, v69, v30, vcc_lo
	s_delay_alu instid0(VALU_DEP_3) | instskip(SKIP_4) | instid1(VALU_DEP_4)
	v_mad_co_u64_u32 v[26:27], null, s9, v31, v[24:25]
	v_dual_mov_b32 v24, v51 :: v_dual_mov_b32 v27, v57
	v_add_co_u32 v58, vcc_lo, v68, v34
	s_wait_alu 0xfffd
	v_add_co_ci_u32_e32 v59, vcc_lo, v69, v35, vcc_lo
	v_mad_co_u64_u32 v[60:61], null, s9, v70, v[25:26]
	v_mad_co_u64_u32 v[61:62], null, s9, v28, v[24:25]
	v_mad_co_u64_u32 v[62:63], null, s9, v32, v[27:28]
	v_mov_b32_e32 v37, v26
	v_fma_f64 v[26:27], v[54:55], 2.0, -v[6:7]
	v_fma_f64 v[24:25], v[14:15], 2.0, -v[4:5]
	;; [unrolled: 1-line block ×8, first 2 shown]
	v_lshlrev_b64_e32 v[44:45], 4, v[64:65]
	v_lshlrev_b64_e32 v[46:47], 4, v[66:67]
	v_mov_b32_e32 v39, v60
	v_lshlrev_b64_e32 v[2:3], 4, v[36:37]
	v_mov_b32_e32 v51, v61
	v_mov_b32_e32 v57, v62
	v_add_co_u32 v0, vcc_lo, v68, v44
	s_wait_alu 0xfffd
	v_add_co_ci_u32_e32 v1, vcc_lo, v69, v45, vcc_lo
	v_add_co_u32 v36, vcc_lo, v68, v46
	v_lshlrev_b64_e32 v[38:39], 4, v[38:39]
	s_wait_alu 0xfffd
	v_add_co_ci_u32_e32 v37, vcc_lo, v69, v47, vcc_lo
	v_lshlrev_b64_e32 v[40:41], 4, v[50:51]
	v_add_co_u32 v2, vcc_lo, v68, v2
	s_wait_alu 0xfffd
	v_add_co_ci_u32_e32 v3, vcc_lo, v69, v3, vcc_lo
	v_lshlrev_b64_e32 v[42:43], 4, v[56:57]
	v_add_co_u32 v38, vcc_lo, v68, v38
	s_wait_alu 0xfffd
	v_add_co_ci_u32_e32 v39, vcc_lo, v69, v39, vcc_lo
	v_add_co_u32 v40, vcc_lo, v68, v40
	s_wait_alu 0xfffd
	v_add_co_ci_u32_e32 v41, vcc_lo, v69, v41, vcc_lo
	;; [unrolled: 3-line block ×3, first 2 shown]
	s_clause 0x7
	global_store_b128 v[48:49], v[24:27], off
	global_store_b128 v[0:1], v[4:7], off
	;; [unrolled: 1-line block ×8, first 2 shown]
.LBB0_37:
	s_nop 0
	s_sendmsg sendmsg(MSG_DEALLOC_VGPRS)
	s_endpgm
	.section	.rodata,"a",@progbits
	.p2align	6, 0x0
	.amdhsa_kernel fft_rtc_fwd_len1848_factors_3_11_7_4_2_wgs_231_tpt_231_halfLds_dp_ip_CI_sbrr_dirReg
		.amdhsa_group_segment_fixed_size 0
		.amdhsa_private_segment_fixed_size 0
		.amdhsa_kernarg_size 88
		.amdhsa_user_sgpr_count 2
		.amdhsa_user_sgpr_dispatch_ptr 0
		.amdhsa_user_sgpr_queue_ptr 0
		.amdhsa_user_sgpr_kernarg_segment_ptr 1
		.amdhsa_user_sgpr_dispatch_id 0
		.amdhsa_user_sgpr_private_segment_size 0
		.amdhsa_wavefront_size32 1
		.amdhsa_uses_dynamic_stack 0
		.amdhsa_enable_private_segment 0
		.amdhsa_system_sgpr_workgroup_id_x 1
		.amdhsa_system_sgpr_workgroup_id_y 0
		.amdhsa_system_sgpr_workgroup_id_z 0
		.amdhsa_system_sgpr_workgroup_info 0
		.amdhsa_system_vgpr_workitem_id 0
		.amdhsa_next_free_vgpr 144
		.amdhsa_next_free_sgpr 35
		.amdhsa_reserve_vcc 1
		.amdhsa_float_round_mode_32 0
		.amdhsa_float_round_mode_16_64 0
		.amdhsa_float_denorm_mode_32 3
		.amdhsa_float_denorm_mode_16_64 3
		.amdhsa_fp16_overflow 0
		.amdhsa_workgroup_processor_mode 1
		.amdhsa_memory_ordered 1
		.amdhsa_forward_progress 0
		.amdhsa_round_robin_scheduling 0
		.amdhsa_exception_fp_ieee_invalid_op 0
		.amdhsa_exception_fp_denorm_src 0
		.amdhsa_exception_fp_ieee_div_zero 0
		.amdhsa_exception_fp_ieee_overflow 0
		.amdhsa_exception_fp_ieee_underflow 0
		.amdhsa_exception_fp_ieee_inexact 0
		.amdhsa_exception_int_div_zero 0
	.end_amdhsa_kernel
	.text
.Lfunc_end0:
	.size	fft_rtc_fwd_len1848_factors_3_11_7_4_2_wgs_231_tpt_231_halfLds_dp_ip_CI_sbrr_dirReg, .Lfunc_end0-fft_rtc_fwd_len1848_factors_3_11_7_4_2_wgs_231_tpt_231_halfLds_dp_ip_CI_sbrr_dirReg
                                        ; -- End function
	.section	.AMDGPU.csdata,"",@progbits
; Kernel info:
; codeLenInByte = 10072
; NumSgprs: 37
; NumVgprs: 144
; ScratchSize: 0
; MemoryBound: 1
; FloatMode: 240
; IeeeMode: 1
; LDSByteSize: 0 bytes/workgroup (compile time only)
; SGPRBlocks: 4
; VGPRBlocks: 17
; NumSGPRsForWavesPerEU: 37
; NumVGPRsForWavesPerEU: 144
; Occupancy: 10
; WaveLimiterHint : 1
; COMPUTE_PGM_RSRC2:SCRATCH_EN: 0
; COMPUTE_PGM_RSRC2:USER_SGPR: 2
; COMPUTE_PGM_RSRC2:TRAP_HANDLER: 0
; COMPUTE_PGM_RSRC2:TGID_X_EN: 1
; COMPUTE_PGM_RSRC2:TGID_Y_EN: 0
; COMPUTE_PGM_RSRC2:TGID_Z_EN: 0
; COMPUTE_PGM_RSRC2:TIDIG_COMP_CNT: 0
	.text
	.p2alignl 7, 3214868480
	.fill 96, 4, 3214868480
	.type	__hip_cuid_f87e4e384893b97f,@object ; @__hip_cuid_f87e4e384893b97f
	.section	.bss,"aw",@nobits
	.globl	__hip_cuid_f87e4e384893b97f
__hip_cuid_f87e4e384893b97f:
	.byte	0                               ; 0x0
	.size	__hip_cuid_f87e4e384893b97f, 1

	.ident	"AMD clang version 19.0.0git (https://github.com/RadeonOpenCompute/llvm-project roc-6.4.0 25133 c7fe45cf4b819c5991fe208aaa96edf142730f1d)"
	.section	".note.GNU-stack","",@progbits
	.addrsig
	.addrsig_sym __hip_cuid_f87e4e384893b97f
	.amdgpu_metadata
---
amdhsa.kernels:
  - .args:
      - .actual_access:  read_only
        .address_space:  global
        .offset:         0
        .size:           8
        .value_kind:     global_buffer
      - .offset:         8
        .size:           8
        .value_kind:     by_value
      - .actual_access:  read_only
        .address_space:  global
        .offset:         16
        .size:           8
        .value_kind:     global_buffer
      - .actual_access:  read_only
        .address_space:  global
        .offset:         24
        .size:           8
        .value_kind:     global_buffer
      - .offset:         32
        .size:           8
        .value_kind:     by_value
      - .actual_access:  read_only
        .address_space:  global
        .offset:         40
        .size:           8
        .value_kind:     global_buffer
      - .actual_access:  read_only
        .address_space:  global
        .offset:         48
        .size:           8
        .value_kind:     global_buffer
      - .offset:         56
        .size:           4
        .value_kind:     by_value
      - .actual_access:  read_only
        .address_space:  global
        .offset:         64
        .size:           8
        .value_kind:     global_buffer
      - .actual_access:  read_only
        .address_space:  global
        .offset:         72
        .size:           8
        .value_kind:     global_buffer
      - .address_space:  global
        .offset:         80
        .size:           8
        .value_kind:     global_buffer
    .group_segment_fixed_size: 0
    .kernarg_segment_align: 8
    .kernarg_segment_size: 88
    .language:       OpenCL C
    .language_version:
      - 2
      - 0
    .max_flat_workgroup_size: 231
    .name:           fft_rtc_fwd_len1848_factors_3_11_7_4_2_wgs_231_tpt_231_halfLds_dp_ip_CI_sbrr_dirReg
    .private_segment_fixed_size: 0
    .sgpr_count:     37
    .sgpr_spill_count: 0
    .symbol:         fft_rtc_fwd_len1848_factors_3_11_7_4_2_wgs_231_tpt_231_halfLds_dp_ip_CI_sbrr_dirReg.kd
    .uniform_work_group_size: 1
    .uses_dynamic_stack: false
    .vgpr_count:     144
    .vgpr_spill_count: 0
    .wavefront_size: 32
    .workgroup_processor_mode: 1
amdhsa.target:   amdgcn-amd-amdhsa--gfx1201
amdhsa.version:
  - 1
  - 2
...

	.end_amdgpu_metadata
